;; amdgpu-corpus repo=ROCm/aiter kind=harvested arch=n/a opt=n/a

/root/src/amdgpu-assembly/repos/ROCm__aiter/hsa/gfx942/fmoe/silu/fmoe_bf16_pertokenFp8_g1u1_vs_tkw1_silu_1tg_ps_32x384.co:	file format elf64-amdgpu

Disassembly of section .text:

0000000000002e00 <_ZN5aiter53fmoe_bf16_pertokenFp8_g1u1_vs_tkw1_silu_1tg_ps_32x384E>:
	v_lshrrev_b32_e32 v1, 10, v0                               // 000000002E00: 2002008A
	v_lshrrev_b32_e32 v2, 10, v1                               // 000000002E04: 2004028A
	v_and_b32_e32 v2, 0x3ff, v2                                // 000000002E08: 260404FF 000003FF
	v_and_b32_e32 v1, 0x3ff, v1                                // 000000002E10: 260202FF 000003FF
	v_and_b32_e32 v0, 0x3ff, v0                                // 000000002E18: 260000FF 000003FF
	v_lshrrev_b32_e32 v3, 6, v0                                // 000000002E20: 20060086
	v_and_b32_e32 v0, 63, v0                                   // 000000002E24: 260000BF
	s_mov_b32 s2, s2                                           // 000000002E28: BE820002
	s_mov_b32 s3, s3                                           // 000000002E2C: BE830003
	s_mov_b32 s4, s4                                           // 000000002E30: BE840004
	s_mov_b32 s99, s2                                          // 000000002E34: BEE30002
	v_readfirstlane_b32 s7, v3                                 // 000000002E38: 7E0E0503
	s_and_b32 s1, s1, 0xffff                                   // 000000002E3C: 8601FF01 0000FFFF
	s_mov_b32 s96, 0                                           // 000000002E44: BEE00080
	s_mov_b32 s97, 0                                           // 000000002E48: BEE10080
	s_mov_b32 s100, 0                                          // 000000002E4C: BEE40080
	s_load_dword s96, s[0:1], 0x1a0                            // 000000002E50: C0021800 000001A0
	s_load_dword s97, s[0:1], 0x1b0                            // 000000002E58: C0021840 000001B0
	s_waitcnt lgkmcnt(0)                                       // 000000002E60: BF8CC07F
	s_cmp_eq_u32 s96, 0                                        // 000000002E64: BF068060
	s_cbranch_scc1 label_005C                                  // 000000002E68: BF850041
	v_cvt_f32_u32_e32 v50, s97                                 // 000000002E6C: 7E640C61
	s_sub_i32 s60, 0, s97                                      // 000000002E70: 81BC6180
	v_rcp_iflag_f32_e32 v50, v50                               // 000000002E74: 7E644732
	s_nop 0                                                    // 000000002E78: BF800000
	v_mul_f32_e32 v50, 0x4f7ffffe, v50                         // 000000002E7C: 0A6464FF 4F7FFFFE
	v_cvt_u32_f32_e32 v50, v50                                 // 000000002E84: 7E640F32
	v_mul_lo_u32 v51, s60, v50                                 // 000000002E88: D2850033 0002643C
	v_mul_hi_u32 v51, v50, v51                                 // 000000002E90: D2860033 00026732
	v_add_u32_e32 v50, v50, v51                                // 000000002E98: 68646732
	v_mul_hi_u32 v50, s96, v50                                 // 000000002E9C: D2860032 00026460
	v_mul_lo_u32 v51, v50, s97                                 // 000000002EA4: D2850033 0000C332
	v_sub_u32_e32 v53, s96, v51                                // 000000002EAC: 6A6A6660
	v_add_u32_e32 v52, 1, v50                                  // 000000002EB0: 68686481
	v_cmp_le_u32_e32 vcc, s97, v53                             // 000000002EB4: 7D966A61
	v_subrev_u32_e32 v51, s97, v53                             // 000000002EB8: 6C666A61
	s_nop 0                                                    // 000000002EBC: BF800000
	v_cndmask_b32_e32 v50, v50, v52, vcc                       // 000000002EC0: 00646932
	v_cndmask_b32_e32 v53, v53, v51, vcc                       // 000000002EC4: 006A6735
	v_add_u32_e32 v51, 1, v50                                  // 000000002EC8: 68666481
	v_cmp_le_u32_e32 vcc, s97, v53                             // 000000002ECC: 7D966A61
	s_nop 1                                                    // 000000002ED0: BF800001
	v_cndmask_b32_e32 v53, v50, v51, vcc                       // 000000002ED4: 006A6732
	s_nop 3                                                    // 000000002ED8: BF800003
	v_readfirstlane_b32 s98, v53                               // 000000002EDC: 7EC40535
	s_nop 3                                                    // 000000002EE0: BF800003

0000000000002ee4 <label_0039>:
	s_mov_b32 s4, 0                                            // 000000002EE4: BE840080
	v_cvt_f32_u32_e32 v50, s97                                 // 000000002EE8: 7E640C61
	s_sub_i32 s60, 0, s97                                      // 000000002EEC: 81BC6180
	v_rcp_iflag_f32_e32 v50, v50                               // 000000002EF0: 7E644732
	s_nop 0                                                    // 000000002EF4: BF800000
	v_mul_f32_e32 v50, 0x4f7ffffe, v50                         // 000000002EF8: 0A6464FF 4F7FFFFE
	v_cvt_u32_f32_e32 v50, v50                                 // 000000002F00: 7E640F32
	v_mul_lo_u32 v51, s60, v50                                 // 000000002F04: D2850033 0002643C
	v_mul_hi_u32 v51, v50, v51                                 // 000000002F0C: D2860033 00026732
	v_add_u32_e32 v50, v50, v51                                // 000000002F14: 68646732
	v_mul_hi_u32 v50, s99, v50                                 // 000000002F18: D2860032 00026463
	v_mul_lo_u32 v51, v50, s97                                 // 000000002F20: D2850033 0000C332
	v_sub_u32_e32 v53, s99, v51                                // 000000002F28: 6A6A6663
	v_add_u32_e32 v52, 1, v50                                  // 000000002F2C: 68686481
	v_cmp_le_u32_e32 vcc, s97, v53                             // 000000002F30: 7D966A61
	v_subrev_u32_e32 v51, s97, v53                             // 000000002F34: 6C666A61
	s_nop 0                                                    // 000000002F38: BF800000
	v_cndmask_b32_e32 v50, v50, v52, vcc                       // 000000002F3C: 00646932
	v_cndmask_b32_e32 v53, v53, v51, vcc                       // 000000002F40: 006A6735
	v_add_u32_e32 v51, 1, v50                                  // 000000002F44: 68666481
	v_cmp_le_u32_e32 vcc, s97, v53                             // 000000002F48: 7D966A61
	s_nop 1                                                    // 000000002F4C: BF800001
	v_cndmask_b32_e32 v53, v50, v51, vcc                       // 000000002F50: 006A6732
	s_nop 3                                                    // 000000002F54: BF800003
	v_readfirstlane_b32 s3, v53                                // 000000002F58: 7E060535
	s_nop 3                                                    // 000000002F5C: BF800003
	s_mul_i32 s60, s3, s97                                     // 000000002F60: 923C6103
	s_sub_u32 s2, s99, s60                                     // 000000002F64: 80823C63
	s_mul_i32 s60, s98, s100                                   // 000000002F68: 923C6462
	s_add_i32 s3, s3, s60                                      // 000000002F6C: 81033C03

0000000000002f70 <label_005C>:
	s_and_b32 s1, s1, 0xffff                                   // 000000002F70: 8601FF01 0000FFFF
	s_load_dwordx2 s[8:9], s[0:1], 0x0                         // 000000002F78: C0060200 00000000
	s_load_dwordx2 s[20:21], s[0:1], 0x10                      // 000000002F80: C0060500 00000010
	s_load_dwordx2 s[24:25], s[0:1], 0x20                      // 000000002F88: C0060600 00000020
	s_load_dwordx2 s[50:51], s[0:1], 0x30                      // 000000002F90: C0060C80 00000030
	s_load_dwordx2 s[12:13], s[0:1], 0x40                      // 000000002F98: C0060300 00000040
	s_load_dwordx2 s[28:29], s[0:1], 0x50                      // 000000002FA0: C0060700 00000050
	s_load_dwordx2 s[32:33], s[0:1], 0x60                      // 000000002FA8: C0060800 00000060
	s_load_dwordx2 s[16:17], s[0:1], 0x70                      // 000000002FB0: C0060400 00000070
	s_load_dwordx2 s[36:37], s[0:1], 0x80                      // 000000002FB8: C0060900 00000080
	s_load_dwordx2 s[44:45], s[0:1], 0x90                      // 000000002FC0: C0060B00 00000090
	s_load_dwordx2 s[40:41], s[0:1], 0xa0                      // 000000002FC8: C0060A00 000000A0
	s_load_dwordx2 s[46:47], s[0:1], 0xb0                      // 000000002FD0: C0060B80 000000B0
	s_load_dword s64, s[0:1], 0xc0                             // 000000002FD8: C0021000 000000C0
	s_load_dword s65, s[0:1], 0xd0                             // 000000002FE0: C0021040 000000D0
	s_load_dword s67, s[0:1], 0xf0                             // 000000002FE8: C00210C0 000000F0
	s_load_dword s68, s[0:1], 0x100                            // 000000002FF0: C0021100 00000100
	s_load_dword s69, s[0:1], 0x110                            // 000000002FF8: C0021140 00000110
	s_load_dword s70, s[0:1], 0x120                            // 000000003000: C0021180 00000120
	s_load_dword s71, s[0:1], 0x130                            // 000000003008: C00211C0 00000130
	s_load_dword s72, s[0:1], 0x140                            // 000000003010: C0021200 00000140
	s_load_dword s73, s[0:1], 0x150                            // 000000003018: C0021240 00000150
	s_load_dword s74, s[0:1], 0x160                            // 000000003020: C0021280 00000160
	s_load_dword s75, s[0:1], 0x170                            // 000000003028: C00212C0 00000170
	s_load_dword s76, s[0:1], 0x180                            // 000000003030: C0021300 00000180
	s_mov_b32 s2, s2                                           // 000000003038: BE820002
	s_mov_b32 s3, s3                                           // 00000000303C: BE830003
	s_mov_b32 s4, s4                                           // 000000003040: BE840004
	s_waitcnt lgkmcnt(0)                                       // 000000003044: BF8CC07F
	s_and_b32 s51, s51, 0xffff                                 // 000000003048: 8633FF33 0000FFFF
	s_load_dword s66, s[50:51], 0x4                            // 000000003050: C0021099 00000004
	s_load_dword s50, s[50:51], 0x0                            // 000000003058: C0020C99 00000000
	s_waitcnt lgkmcnt(0)                                       // 000000003060: BF8CC07F
	s_and_b32 s45, s45, 0xffff                                 // 000000003064: 862DFF2D 0000FFFF
	s_and_b32 s47, s47, 0xffff                                 // 00000000306C: 862FFF2F 0000FFFF
	s_and_b32 s9, s9, 0xffff                                   // 000000003074: 8609FF09 0000FFFF
	s_mul_i32 s60, s66, s68                                    // 00000000307C: 923C4442
	s_mul_i32 s61, s66, 4                                      // 000000003080: 923D8442
	s_mov_b32 s22, s60                                         // 000000003084: BE96003C
	s_mov_b32 s26, 0x80000000                                  // 000000003088: BE9A00FF 80000000
	s_mov_b32 s14, 0x80000000                                  // 000000003090: BE8E00FF 80000000
	s_mov_b32 s42, 0x80000000                                  // 000000003098: BEAA00FF 80000000
	s_mov_b32 s30, s61                                         // 0000000030A0: BE9E003D
	s_mov_b32 s34, 0x600                                       // 0000000030A4: BEA200FF 00000600
	s_mov_b32 s38, 0x600                                       // 0000000030AC: BEA600FF 00000600
	s_mov_b32 s18, 0x80000000                                  // 0000000030B4: BE9200FF 80000000
	s_mov_b32 s23, 0x20000                                     // 0000000030BC: BE9700FF 00020000
	s_mov_b32 s27, 0x20000                                     // 0000000030C4: BE9B00FF 00020000
	s_mov_b32 s15, 0x20000                                     // 0000000030CC: BE8F00FF 00020000
	s_mov_b32 s43, 0x20000                                     // 0000000030D4: BEAB00FF 00020000
	s_mov_b32 s31, 0x20000                                     // 0000000030DC: BE9F00FF 00020000
	s_mov_b32 s35, 0x20000                                     // 0000000030E4: BEA300FF 00020000
	s_mov_b32 s39, 0x20000                                     // 0000000030EC: BEA700FF 00020000
	s_mov_b32 s19, 0x20000                                     // 0000000030F4: BE9300FF 00020000
	s_and_b32 s21, s21, 0xffff                                 // 0000000030FC: 8615FF15 0000FFFF
	s_and_b32 s25, s25, 0xffff                                 // 000000003104: 8619FF19 0000FFFF
	s_and_b32 s13, s13, 0xffff                                 // 00000000310C: 860DFF0D 0000FFFF
	s_and_b32 s41, s41, 0xffff                                 // 000000003114: 8629FF29 0000FFFF
	s_and_b32 s29, s29, 0xffff                                 // 00000000311C: 861DFF1D 0000FFFF
	s_and_b32 s33, s33, 0xffff                                 // 000000003124: 8621FF21 0000FFFF
	s_and_b32 s37, s37, 0xffff                                 // 00000000312C: 8625FF25 0000FFFF
	s_and_b32 s17, s17, 0xffff                                 // 000000003134: 8611FF11 0000FFFF
	s_or_b32 s21, s21, 0x40000                                 // 00000000313C: 8715FF15 00040000
	s_or_b32 s25, s25, 0x40000                                 // 000000003144: 8719FF19 00040000
	s_or_b32 s13, s13, 0x40000                                 // 00000000314C: 870DFF0D 00040000
	s_or_b32 s41, s41, 0x40000                                 // 000000003154: 8729FF29 00040000
	s_or_b32 s29, s29, 0x40000                                 // 00000000315C: 871DFF1D 00040000
	s_or_b32 s33, s33, 0x40000                                 // 000000003164: 8721FF21 00040000
	s_or_b32 s37, s37, 0x40000                                 // 00000000316C: 8725FF25 00040000
	s_or_b32 s17, s17, 0x40000                                 // 000000003174: 8711FF11 00040000
	v_accvgpr_write_b32 a191, 0                                // 00000000317C: D3D940BF 18000080
	v_mov_b32_e32 v239, 0                                      // 000000003184: 7FDE0280
	s_waitcnt lgkmcnt(0)                                       // 000000003188: BF8CC07F
	s_mul_i32 s60, s3, 32                                      // 00000000318C: 923CA003
	s_cmp_lt_i32 s60, s50                                      // 000000003190: BF04323C
	s_cbranch_scc0 label_2017                                  // 000000003194: BF841F31
	s_mov_b32 s80, 0                                           // 000000003198: BED00080
	s_mov_b32 s81, s64                                         // 00000000319C: BED10040
	s_mul_i32 s60, s3, 4                                       // 0000000031A0: 923C8403
	s_add_u32 s46, s60, s46                                    // 0000000031A4: 802E2E3C
	s_addc_u32 s47, 0, s47                                     // 0000000031A8: 822F2F80
	s_load_dword s5, s[46:47], 0x0                             // 0000000031AC: C0020157 00000000
	s_mul_i32 s60, s3, 32                                      // 0000000031B4: 923CA003
	s_mul_i32 s60, 4, s60                                      // 0000000031B8: 923C3C84
	v_and_b32_e32 v50, 15, v0                                  // 0000000031BC: 2664008F
	v_lshlrev_b32_e32 v50, 2, v50                              // 0000000031C0: 24646482
	v_add_u32_e32 v50, s60, v50                                // 0000000031C4: 6864643C
	v_mov_b32_e32 v51, 0                                       // 0000000031C8: 7E660280
	global_load_dword v6, v50, s[44:45]                        // 0000000031CC: DC508000 062C0032
	v_add_u32_e32 v50, 64, v50                                 // 0000000031D4: 686464C0
	global_load_dword v7, v50, s[44:45]                        // 0000000031D8: DC508000 072C0032
	s_mul_i32 s60, s3, 32                                      // 0000000031E0: 923CA003
	s_add_u32 s60, s7, s60                                     // 0000000031E4: 803C3C07
	s_mul_i32 s60, 4, s60                                      // 0000000031E8: 923C3C84
	s_add_u32 s44, s60, s44                                    // 0000000031EC: 802C2C3C
	s_addc_u32 s45, 0, s45                                     // 0000000031F0: 822D2D80
	s_load_dword s82, s[44:45], 0x0                            // 0000000031F4: C0021496 00000000
	s_load_dword s83, s[44:45], 0x10                           // 0000000031FC: C00214D6 00000010
	s_load_dword s84, s[44:45], 0x20                           // 000000003204: C0021516 00000020
	s_load_dword s85, s[44:45], 0x30                           // 00000000320C: C0021556 00000030
	s_load_dword s86, s[44:45], 0x40                           // 000000003214: C0021596 00000040
	s_load_dword s87, s[44:45], 0x50                           // 00000000321C: C00215D6 00000050
	s_load_dword s88, s[44:45], 0x60                           // 000000003224: C0021616 00000060
	s_load_dword s89, s[44:45], 0x70                           // 00000000322C: C0021656 00000070
	s_waitcnt lgkmcnt(0)                                       // 000000003234: BF8CC07F
	v_lshlrev_b32_e32 v50, 2, v0                               // 000000003238: 24640082
	s_and_b32 s82, s82, 0xffffff                               // 00000000323C: 8652FF52 00FFFFFF
	s_mul_i32 s60, s82, s68                                    // 000000003244: 923C4452
	v_add_u32_e64 v26, v50, s60                                // 000000003248: D134001A 00007932
	s_and_b32 s83, s83, 0xffffff                               // 000000003250: 8653FF53 00FFFFFF
	s_mul_i32 s60, s83, s68                                    // 000000003258: 923C4453
	v_add_u32_e64 v27, v50, s60                                // 00000000325C: D134001B 00007932
	s_and_b32 s84, s84, 0xffffff                               // 000000003264: 8654FF54 00FFFFFF
	s_mul_i32 s60, s84, s68                                    // 00000000326C: 923C4454
	v_add_u32_e64 v28, v50, s60                                // 000000003270: D134001C 00007932
	s_and_b32 s85, s85, 0xffffff                               // 000000003278: 8655FF55 00FFFFFF
	s_mul_i32 s60, s85, s68                                    // 000000003280: 923C4455
	v_add_u32_e64 v29, v50, s60                                // 000000003284: D134001D 00007932
	s_and_b32 s86, s86, 0xffffff                               // 00000000328C: 8656FF56 00FFFFFF
	s_mul_i32 s60, s86, s68                                    // 000000003294: 923C4456
	v_add_u32_e64 v30, v50, s60                                // 000000003298: D134001E 00007932
	s_and_b32 s87, s87, 0xffffff                               // 0000000032A0: 8657FF57 00FFFFFF
	s_mul_i32 s60, s87, s68                                    // 0000000032A8: 923C4457
	v_add_u32_e64 v31, v50, s60                                // 0000000032AC: D134001F 00007932
	s_and_b32 s88, s88, 0xffffff                               // 0000000032B4: 8658FF58 00FFFFFF
	s_mul_i32 s60, s88, s68                                    // 0000000032BC: 923C4458
	v_add_u32_e64 v32, v50, s60                                // 0000000032C0: D1340020 00007932
	s_and_b32 s89, s89, 0xffffff                               // 0000000032C8: 8659FF59 00FFFFFF
	s_mul_i32 s60, s89, s68                                    // 0000000032D0: 923C4459
	v_add_u32_e64 v33, v50, s60                                // 0000000032D4: D1340021 00007932
	v_lshlrev_b32_e32 v50, 2, v0                               // 0000000032DC: 24640082
	s_mul_i32 s60, s82, s71                                    // 0000000032E0: 923C4752
	v_add_u32_e64 v80, v50, s60                                // 0000000032E4: D1340050 00007932
	v_mov_b32_e32 v81, 0                                       // 0000000032EC: 7EA20280
	s_mul_i32 s60, s83, s71                                    // 0000000032F0: 923C4753
	v_add_u32_e64 v82, v50, s60                                // 0000000032F4: D1340052 00007932
	v_mov_b32_e32 v83, 0                                       // 0000000032FC: 7EA60280
	s_mul_i32 s60, s84, s71                                    // 000000003300: 923C4754
	v_add_u32_e64 v84, v50, s60                                // 000000003304: D1340054 00007932
	v_mov_b32_e32 v85, 0                                       // 00000000330C: 7EAA0280
	s_mul_i32 s60, s85, s71                                    // 000000003310: 923C4755
	v_add_u32_e64 v86, v50, s60                                // 000000003314: D1340056 00007932
	v_mov_b32_e32 v87, 0                                       // 00000000331C: 7EAE0280
	s_mul_i32 s60, s86, s71                                    // 000000003320: 923C4756
	v_add_u32_e64 v88, v50, s60                                // 000000003324: D1340058 00007932
	v_mov_b32_e32 v89, 0                                       // 00000000332C: 7EB20280
	s_mul_i32 s60, s87, s71                                    // 000000003330: 923C4757
	v_add_u32_e64 v90, v50, s60                                // 000000003334: D134005A 00007932
	v_mov_b32_e32 v91, 0                                       // 00000000333C: 7EB60280
	s_mul_i32 s60, s88, s71                                    // 000000003340: 923C4758
	v_add_u32_e64 v92, v50, s60                                // 000000003344: D134005C 00007932
	v_mov_b32_e32 v93, 0                                       // 00000000334C: 7EBA0280
	s_mul_i32 s60, s89, s71                                    // 000000003350: 923C4759
	v_add_u32_e64 v94, v50, s60                                // 000000003354: D134005E 00007932
	v_mov_b32_e32 v95, 0                                       // 00000000335C: 7EBE0280
	s_mul_i32 s60, s7, 0x820                                   // 000000003360: 923CFF07 00000820
	s_add_u32 s50, 0, s60                                      // 000000003368: 80323C80
	s_add_u32 s51, 0x2080, s50                                 // 00000000336C: 803332FF 00002080
	v_lshrrev_b32_e32 v50, 4, v0                               // 000000003374: 20640084
	v_lshlrev_b32_e32 v51, 2, v50                              // 000000003378: 24666482
	v_and_b32_e32 v50, 15, v0                                  // 00000000337C: 2664008F
	v_lshrrev_b32_e32 v52, 2, v50                              // 000000003380: 20686482
	v_lshlrev_b32_e32 v52, 6, v52                              // 000000003384: 24686886
	v_add_u32_e32 v51, v52, v51                                // 000000003388: 68666734
	v_and_b32_e32 v50, 3, v0                                   // 00000000338C: 26640083
	v_mul_i32_i24_e32 v52, 0x208, v50                          // 000000003390: 0C6864FF 00000208
	v_add_u32_e32 v51, v52, v51                                // 000000003398: 68666734
	v_lshlrev_b32_e32 v2, 2, v51                               // 00000000339C: 24046682
	s_mul_i32 s60, s2, 0x180                                   // 0000000033A0: 923CFF02 00000180
	s_mul_i32 s60, s60, s69                                    // 0000000033A8: 923C453C
	s_mul_i32 s61, s5, s72                                     // 0000000033AC: 923D4805
	s_add_u32 s60, s61, s60                                    // 0000000033B0: 803C3C3D
	s_add_u32 s24, s60, s24                                    // 0000000033B4: 8018183C
	s_addc_u32 s25, 0, s25                                     // 0000000033B8: 82191980
	s_mul_i32 s60, s7, 16                                      // 0000000033BC: 923C9007
	s_mul_i32 s60, s60, s69                                    // 0000000033C0: 923C453C
	v_lshlrev_b32_e32 v34, 4, v0                               // 0000000033C4: 24440084
	v_add_u32_e32 v34, s60, v34                                // 0000000033C8: 6844443C
	s_mul_i32 s60, 64, s69                                     // 0000000033CC: 923C45C0
	v_add_u32_e32 v35, s60, v34                                // 0000000033D0: 6846443C
	v_add_u32_e32 v36, s60, v35                                // 0000000033D4: 6848463C
	v_add_u32_e32 v37, s60, v36                                // 0000000033D8: 684A483C
	v_add_u32_e32 v38, s60, v37                                // 0000000033DC: 684C4A3C
	v_add_u32_e32 v39, s60, v38                                // 0000000033E0: 684E4C3C
	s_mov_b32 s92, s24                                         // 0000000033E4: BEDC0018
	s_mov_b32 s93, s25                                         // 0000000033E8: BEDD0019
	s_mov_b32 s94, s26                                         // 0000000033EC: BEDE001A
	s_mov_b32 s95, s27                                         // 0000000033F0: BEDF001B
	s_mul_i32 s60, s69, s65                                    // 0000000033F4: 923C4145
	s_add_u32 s92, s60, s92                                    // 0000000033F8: 805C5C3C
	s_addc_u32 s93, 0, s93                                     // 0000000033FC: 825D5D80
	s_mul_i32 s60, s2, 0x1800                                  // 000000003400: 923CFF02 00001800
	s_mul_i32 s61, s5, s73                                     // 000000003408: 923D4905
	s_add_u32 s60, s61, s60                                    // 00000000340C: 803C3C3D
	s_add_u32 s12, s60, s12                                    // 000000003410: 800C0C3C
	s_addc_u32 s13, 0, s13                                     // 000000003414: 820D0D80
	s_mul_i32 s60, s7, 16                                      // 000000003418: 923C9007
	s_mul_i32 s60, s60, s70                                    // 00000000341C: 923C463C
	v_lshlrev_b32_e32 v40, 4, v0                               // 000000003420: 24500084
	v_add_u32_e32 v40, s60, v40                                // 000000003424: 6850503C
	s_mul_i32 s60, 64, s70                                     // 000000003428: 923C46C0
	v_add_u32_e32 v41, s60, v40                                // 00000000342C: 6852503C
	v_add_u32_e32 v42, s60, v41                                // 000000003430: 6854523C
	v_add_u32_e32 v43, s60, v42                                // 000000003434: 6856543C
	s_mul_i32 s60, s70, 0x100                                  // 000000003438: 923CFF46 00000100
	s_mov_b32 s78, 0x400                                       // 000000003440: BECE00FF 00000400
	s_mul_i32 s61, s78, 5                                      // 000000003448: 923D854E
	s_sub_u32 s56, s60, s61                                    // 00000000344C: 80B83D3C
	s_mul_i32 s60, s3, 32                                      // 000000003450: 923CA003
	s_mul_i32 s60, 4, s60                                      // 000000003454: 923C3C84
	s_add_u32 s40, s60, s40                                    // 000000003458: 8028283C
	s_addc_u32 s41, 0, s41                                     // 00000000345C: 82292980
	v_and_b32_e32 v50, 15, v0                                  // 000000003460: 2664008F
	v_lshlrev_b32_e32 v8, 2, v50                               // 000000003464: 24106482
	v_add_u32_e32 v9, 64, v8                                   // 000000003468: 681210C0
	v_lshrrev_b32_e32 v50, 4, v0                               // 00000000346C: 20640084
	v_lshlrev_b32_e32 v51, 2, v50                              // 000000003470: 24666482
	v_and_b32_e32 v50, 15, v0                                  // 000000003474: 2664008F
	v_lshrrev_b32_e32 v52, 2, v50                              // 000000003478: 20686482
	v_lshlrev_b32_e32 v52, 6, v52                              // 00000000347C: 24686886
	v_add_u32_e32 v51, v52, v51                                // 000000003480: 68666734
	v_and_b32_e32 v50, 3, v0                                   // 000000003484: 26640083
	v_add_u32_e32 v51, v50, v51                                // 000000003488: 68666732
	v_lshlrev_b32_e32 v10, 2, v51                              // 00000000348C: 24146682
	v_add_u32_e32 v11, 0x400, v10                              // 000000003490: 681614FF 00000400
	s_mul_i32 s60, s7, 16                                      // 000000003498: 923C9007
	s_mul_i32 s60, s60, 4                                      // 00000000349C: 923C843C
	v_add_u32_e32 v10, s60, v10                                // 0000000034A0: 6814143C
	v_add_u32_e32 v11, s60, v11                                // 0000000034A4: 6816163C
	v_mov_b32_e32 v5, v10                                      // 0000000034A8: 7E0A030A
	s_mul_i32 s60, s2, 0x180                                   // 0000000034AC: 923CFF02 00000180
	s_mul_i32 s60, s60, 4                                      // 0000000034B4: 923C843C
	s_mul_i32 s61, s5, s74                                     // 0000000034B8: 923D4A05
	s_add_u32 s61, s61, s60                                    // 0000000034BC: 803D3C3D
	s_mul_i32 s62, s5, s76                                     // 0000000034C0: 923E4C05
	s_add_u32 s62, s62, s60                                    // 0000000034C4: 803E3C3E
	s_add_u32 s32, s61, s32                                    // 0000000034C8: 8020203D
	s_addc_u32 s33, 0, s33                                     // 0000000034CC: 82212180
	s_add_u32 s36, s62, s36                                    // 0000000034D0: 8024243E
	s_addc_u32 s37, 0, s37                                     // 0000000034D4: 82252580
	s_mul_i32 s60, s5, s75                                     // 0000000034D8: 923C4B05
	s_add_u32 s16, s60, s16                                    // 0000000034DC: 8010103C
	s_addc_u32 s17, 0, s17                                     // 0000000034E0: 82111180
	s_mov_b32 s57, 0x100                                       // 0000000034E4: BEB900FF 00000100
	s_mov_b32 s58, 0x1000                                      // 0000000034EC: BEBA00FF 00001000
	s_mov_b32 s79, 0x400                                       // 0000000034F4: BECF00FF 00000400
	s_mov_b32 s59, 0x200                                       // 0000000034FC: BEBB00FF 00000200
	s_mov_b32 s90, s58                                         // 000000003504: BEDA003A
	s_mov_b32 s52, 0x7060302                                   // 000000003508: BEB400FF 07060302
	s_mov_b32 s53, 0x400                                       // 000000003510: BEB500FF 00000400
	s_mov_b32 s54, 0x40100                                     // 000000003518: BEB600FF 00040100
	s_mov_b32 s55, 0x4020100                                   // 000000003520: BEB700FF 04020100
	s_mov_b32 s6, 0x3fb8aa3b                                   // 000000003528: BE8600FF 3FB8AA3B
	s_mov_b32 s77, 0xbd92220c                                  // 000000003530: BECD00FF BD92220C
	s_mov_b32 m0, s50                                          // 000000003538: BEFC0032
	v_mov_b32_e32 v1, 0xbfcc4231                               // 00000000353C: 7E0202FF BFCC4231
	v_mov_b32_e32 v45, 0xffff0000                              // 000000003544: 7E5A02FF FFFF0000
	v_mov_b32_e32 v46, 0x7fff0000                              // 00000000354C: 7E5C02FF 7FFF0000
	v_mov_b32_e32 v47, 0x7fff                                  // 000000003554: 7E5E02FF 00007FFF
	s_waitcnt vmcnt(0) expcnt(0) lgkmcnt(0)                    // 00000000355C: BF8C0000
	v_and_b32_e32 v6, 0xffffff, v6                             // 000000003560: 260C0CFF 00FFFFFF
	v_and_b32_e32 v7, 0xffffff, v7                             // 000000003568: 260E0EFF 00FFFFFF
	v_lshlrev_b32_e32 v6, 2, v6                                // 000000003570: 240C0C82
	v_lshlrev_b32_e32 v7, 2, v7                                // 000000003574: 240E0E82
	buffer_load_dword v14, v6, s[28:31], 0 offen               // 000000003578: E0501000 80070E06
	buffer_load_dword v15, v7, s[28:31], 0 offen               // 000000003580: E0501000 80070F07
	buffer_load_dword v16, v10, s[32:35], 0 offen              // 000000003588: E0501000 8008100A
	buffer_load_dword v17, v11, s[32:35], 0 offen              // 000000003590: E0501000 8008110B
	s_mul_i32 s60, 4, s65                                      // 000000003598: 923C4184
	s_add_u32 s32, s60, s32                                    // 00000000359C: 8020203C
	s_addc_u32 s33, 0, s33                                     // 0000000035A0: 82212180
	buffer_load_dword v48, v10, s[32:35], 0 offen              // 0000000035A4: E0501000 8008300A
	buffer_load_dword v49, v11, s[32:35], 0 offen              // 0000000035AC: E0501000 8008310B
	buffer_load_dword v20, v8, s[40:43], 0 offen               // 0000000035B4: E0501000 800A1408
	buffer_load_dword v21, v9, s[40:43], 0 offen               // 0000000035BC: E0501000 800A1509
	buffer_load_dword v26, s[20:23], 0 offen lds               // 0000000035C4: E0511000 8005001A
	s_add_u32 m0, 0x100, s50                                   // 0000000035CC: 807C32FF 00000100
	buffer_load_dword v27, s[20:23], 0 offen lds               // 0000000035D4: E0511000 8005001B
	s_add_u32 m0, 0x200, s50                                   // 0000000035DC: 807C32FF 00000200
	buffer_load_dword v28, s[20:23], 0 offen lds               // 0000000035E4: E0511000 8005001C
	s_add_u32 m0, 0x300, s50                                   // 0000000035EC: 807C32FF 00000300
	buffer_load_dword v29, s[20:23], 0 offen lds               // 0000000035F4: E0511000 8005001D
	s_add_u32 m0, 0x400, s50                                   // 0000000035FC: 807C32FF 00000400
	buffer_load_dword v30, s[20:23], 0 offen lds               // 000000003604: E0511000 8005001E
	s_add_u32 m0, 0x500, s50                                   // 00000000360C: 807C32FF 00000500
	buffer_load_dword v31, s[20:23], 0 offen lds               // 000000003614: E0511000 8005001F
	s_add_u32 m0, 0x600, s50                                   // 00000000361C: 807C32FF 00000600
	buffer_load_dword v32, s[20:23], 0 offen lds               // 000000003624: E0511000 80050020
	s_add_u32 m0, 0x700, s50                                   // 00000000362C: 807C32FF 00000700
	buffer_load_dword v33, s[20:23], 0 offen lds               // 000000003634: E0511000 80050021
	s_add_u32 m0, 0, s51                                       // 00000000363C: 807C3380
	s_add_u32 s20, s57, s20                                    // 000000003640: 80141439
	s_addc_u32 s21, 0, s21                                     // 000000003644: 82151580
	buffer_load_dwordx4 a[0:3], v34, s[24:27], 0 offen         // 000000003648: E05C1000 80860022
	buffer_load_dwordx4 a[4:7], v34, s[24:27], 0 offen offset:1024// 000000003650: E05C1400 80860422
	buffer_load_dwordx4 a[8:11], v34, s[24:27], 0 offen offset:2048// 000000003658: E05C1800 80860822
	buffer_load_dwordx4 a[12:15], v34, s[24:27], 0 offen offset:3072// 000000003660: E05C1C00 80860C22
	buffer_load_dwordx4 a[16:19], v35, s[24:27], 0 offen       // 000000003668: E05C1000 80861023
	buffer_load_dwordx4 a[20:23], v35, s[24:27], 0 offen offset:1024// 000000003670: E05C1400 80861423
	buffer_load_dwordx4 a[24:27], v35, s[24:27], 0 offen offset:2048// 000000003678: E05C1800 80861823
	buffer_load_dwordx4 a[28:31], v35, s[24:27], 0 offen offset:3072// 000000003680: E05C1C00 80861C23
	buffer_load_dwordx4 a[32:35], v36, s[24:27], 0 offen       // 000000003688: E05C1000 80862024
	buffer_load_dwordx4 a[36:39], v36, s[24:27], 0 offen offset:1024// 000000003690: E05C1400 80862424
	buffer_load_dwordx4 a[40:43], v36, s[24:27], 0 offen offset:2048// 000000003698: E05C1800 80862824
	buffer_load_dwordx4 a[44:47], v36, s[24:27], 0 offen offset:3072// 0000000036A0: E05C1C00 80862C24
	buffer_load_dwordx4 a[48:51], v37, s[24:27], 0 offen       // 0000000036A8: E05C1000 80863025
	buffer_load_dwordx4 a[52:55], v37, s[24:27], 0 offen offset:1024// 0000000036B0: E05C1400 80863425
	buffer_load_dwordx4 a[56:59], v37, s[24:27], 0 offen offset:2048// 0000000036B8: E05C1800 80863825
	buffer_load_dwordx4 a[60:63], v37, s[24:27], 0 offen offset:3072// 0000000036C0: E05C1C00 80863C25
	buffer_load_dwordx4 a[64:67], v38, s[24:27], 0 offen       // 0000000036C8: E05C1000 80864026
	buffer_load_dwordx4 a[68:71], v38, s[24:27], 0 offen offset:1024// 0000000036D0: E05C1400 80864426
	buffer_load_dwordx4 a[72:75], v38, s[24:27], 0 offen offset:2048// 0000000036D8: E05C1800 80864826
	buffer_load_dwordx4 a[76:79], v38, s[24:27], 0 offen offset:3072// 0000000036E0: E05C1C00 80864C26
	buffer_load_dwordx4 a[80:83], v39, s[24:27], 0 offen       // 0000000036E8: E05C1000 80865027
	buffer_load_dwordx4 a[84:87], v39, s[24:27], 0 offen offset:1024// 0000000036F0: E05C1400 80865427
	buffer_load_dwordx4 a[88:91], v39, s[24:27], 0 offen offset:2048// 0000000036F8: E05C1800 80865827
	buffer_load_dwordx4 a[92:95], v39, s[24:27], 0 offen offset:3072// 000000003700: E05C1C00 80865C27
	s_add_u32 s24, s58, s24                                    // 000000003708: 8018183A
	s_addc_u32 s25, 0, s25                                     // 00000000370C: 82191980
	v_mov_b32_e32 v128, 0                                      // 000000003710: 7F000280
	v_mov_b32_e32 v64, 0                                       // 000000003714: 7E800280
	v_mov_b32_e32 v129, 0                                      // 000000003718: 7F020280
	v_mov_b32_e32 v65, 0                                       // 00000000371C: 7E820280
	v_mov_b32_e32 v130, 0                                      // 000000003720: 7F040280
	v_mov_b32_e32 v66, 0                                       // 000000003724: 7E840280
	v_mov_b32_e32 v131, 0                                      // 000000003728: 7F060280
	v_mov_b32_e32 v67, 0                                       // 00000000372C: 7E860280
	v_mov_b32_e32 v132, 0                                      // 000000003730: 7F080280
	v_mov_b32_e32 v68, 0                                       // 000000003734: 7E880280
	v_mov_b32_e32 v133, 0                                      // 000000003738: 7F0A0280
	v_mov_b32_e32 v69, 0                                       // 00000000373C: 7E8A0280
	v_mov_b32_e32 v134, 0                                      // 000000003740: 7F0C0280
	v_mov_b32_e32 v70, 0                                       // 000000003744: 7E8C0280
	v_mov_b32_e32 v135, 0                                      // 000000003748: 7F0E0280
	v_mov_b32_e32 v71, 0                                       // 00000000374C: 7E8E0280
	v_mov_b32_e32 v136, 0                                      // 000000003750: 7F100280
	v_mov_b32_e32 v72, 0                                       // 000000003754: 7E900280
	v_mov_b32_e32 v137, 0                                      // 000000003758: 7F120280
	v_mov_b32_e32 v73, 0                                       // 00000000375C: 7E920280
	v_mov_b32_e32 v138, 0                                      // 000000003760: 7F140280
	v_mov_b32_e32 v74, 0                                       // 000000003764: 7E940280
	v_mov_b32_e32 v139, 0                                      // 000000003768: 7F160280
	v_mov_b32_e32 v75, 0                                       // 00000000376C: 7E960280
	v_mov_b32_e32 v140, 0                                      // 000000003770: 7F180280
	v_mov_b32_e32 v76, 0                                       // 000000003774: 7E980280
	v_mov_b32_e32 v141, 0                                      // 000000003778: 7F1A0280
	v_mov_b32_e32 v77, 0                                       // 00000000377C: 7E9A0280
	v_mov_b32_e32 v142, 0                                      // 000000003780: 7F1C0280
	v_mov_b32_e32 v78, 0                                       // 000000003784: 7E9C0280
	v_mov_b32_e32 v143, 0                                      // 000000003788: 7F1E0280
	v_mov_b32_e32 v79, 0                                       // 00000000378C: 7E9E0280
	v_mov_b32_e32 v144, 0                                      // 000000003790: 7F200280
	v_mov_b32_e32 v80, 0                                       // 000000003794: 7EA00280
	v_mov_b32_e32 v145, 0                                      // 000000003798: 7F220280
	v_mov_b32_e32 v81, 0                                       // 00000000379C: 7EA20280
	v_mov_b32_e32 v146, 0                                      // 0000000037A0: 7F240280
	v_mov_b32_e32 v82, 0                                       // 0000000037A4: 7EA40280
	v_mov_b32_e32 v147, 0                                      // 0000000037A8: 7F260280
	v_mov_b32_e32 v83, 0                                       // 0000000037AC: 7EA60280
	v_mov_b32_e32 v148, 0                                      // 0000000037B0: 7F280280
	v_mov_b32_e32 v84, 0                                       // 0000000037B4: 7EA80280
	v_mov_b32_e32 v149, 0                                      // 0000000037B8: 7F2A0280
	v_mov_b32_e32 v85, 0                                       // 0000000037BC: 7EAA0280
	v_mov_b32_e32 v150, 0                                      // 0000000037C0: 7F2C0280
	v_mov_b32_e32 v86, 0                                       // 0000000037C4: 7EAC0280
	v_mov_b32_e32 v151, 0                                      // 0000000037C8: 7F2E0280
	v_mov_b32_e32 v87, 0                                       // 0000000037CC: 7EAE0280
	v_mov_b32_e32 v152, 0                                      // 0000000037D0: 7F300280
	v_mov_b32_e32 v88, 0                                       // 0000000037D4: 7EB00280
	v_mov_b32_e32 v153, 0                                      // 0000000037D8: 7F320280
	v_mov_b32_e32 v89, 0                                       // 0000000037DC: 7EB20280
	v_mov_b32_e32 v154, 0                                      // 0000000037E0: 7F340280
	v_mov_b32_e32 v90, 0                                       // 0000000037E4: 7EB40280
	v_mov_b32_e32 v155, 0                                      // 0000000037E8: 7F360280
	v_mov_b32_e32 v91, 0                                       // 0000000037EC: 7EB60280
	v_mov_b32_e32 v156, 0                                      // 0000000037F0: 7F380280
	v_mov_b32_e32 v92, 0                                       // 0000000037F4: 7EB80280
	v_mov_b32_e32 v157, 0                                      // 0000000037F8: 7F3A0280
	v_mov_b32_e32 v93, 0                                       // 0000000037FC: 7EBA0280
	v_mov_b32_e32 v158, 0                                      // 000000003800: 7F3C0280
	v_mov_b32_e32 v94, 0                                       // 000000003804: 7EBC0280
	v_mov_b32_e32 v159, 0                                      // 000000003808: 7F3E0280
	v_mov_b32_e32 v95, 0                                       // 00000000380C: 7EBE0280
	v_mov_b32_e32 v160, 0                                      // 000000003810: 7F400280
	v_mov_b32_e32 v96, 0                                       // 000000003814: 7EC00280
	v_mov_b32_e32 v161, 0                                      // 000000003818: 7F420280
	v_mov_b32_e32 v97, 0                                       // 00000000381C: 7EC20280
	v_mov_b32_e32 v162, 0                                      // 000000003820: 7F440280
	v_mov_b32_e32 v98, 0                                       // 000000003824: 7EC40280
	v_mov_b32_e32 v163, 0                                      // 000000003828: 7F460280
	v_mov_b32_e32 v99, 0                                       // 00000000382C: 7EC60280
	v_mov_b32_e32 v164, 0                                      // 000000003830: 7F480280
	v_mov_b32_e32 v100, 0                                      // 000000003834: 7EC80280
	v_mov_b32_e32 v165, 0                                      // 000000003838: 7F4A0280
	v_mov_b32_e32 v101, 0                                      // 00000000383C: 7ECA0280
	v_mov_b32_e32 v166, 0                                      // 000000003840: 7F4C0280
	v_mov_b32_e32 v102, 0                                      // 000000003844: 7ECC0280
	v_mov_b32_e32 v167, 0                                      // 000000003848: 7F4E0280
	v_mov_b32_e32 v103, 0                                      // 00000000384C: 7ECE0280
	v_mov_b32_e32 v168, 0                                      // 000000003850: 7F500280
	v_mov_b32_e32 v104, 0                                      // 000000003854: 7ED00280
	v_mov_b32_e32 v169, 0                                      // 000000003858: 7F520280
	v_mov_b32_e32 v105, 0                                      // 00000000385C: 7ED20280
	v_mov_b32_e32 v170, 0                                      // 000000003860: 7F540280
	v_mov_b32_e32 v106, 0                                      // 000000003864: 7ED40280
	v_mov_b32_e32 v171, 0                                      // 000000003868: 7F560280
	v_mov_b32_e32 v107, 0                                      // 00000000386C: 7ED60280
	v_mov_b32_e32 v172, 0                                      // 000000003870: 7F580280
	v_mov_b32_e32 v108, 0                                      // 000000003874: 7ED80280
	v_mov_b32_e32 v173, 0                                      // 000000003878: 7F5A0280
	v_mov_b32_e32 v109, 0                                      // 00000000387C: 7EDA0280
	v_mov_b32_e32 v174, 0                                      // 000000003880: 7F5C0280
	v_mov_b32_e32 v110, 0                                      // 000000003884: 7EDC0280
	v_mov_b32_e32 v175, 0                                      // 000000003888: 7F5E0280
	v_mov_b32_e32 v111, 0                                      // 00000000388C: 7EDE0280
	v_lshrrev_b32_e32 v50, 4, v0                               // 000000003890: 20640084
	v_mul_i32_i24_e32 v3, 34, v50                              // 000000003894: 0C0664A2
	v_and_b32_e32 v50, 15, v0                                  // 000000003898: 2664008F
	v_mul_i32_i24_e32 v51, 2, v50                              // 00000000389C: 0C666482
	v_add_u32_e32 v3, v51, v3                                  // 0000000038A0: 68060733
	s_mul_i32 s60, s7, 0x88                                    // 0000000038A4: 923CFF07 00000088
	v_add_u32_e32 v3, s60, v3                                  // 0000000038AC: 6806063C
	v_lshlrev_b32_e32 v3, 2, v3                                // 0000000038B0: 24060682
	v_lshrrev_b32_e32 v50, 1, v0                               // 0000000038B4: 20640081
	v_mul_i32_i24_e32 v4, 34, v50                              // 0000000038B8: 0C0864A2
	v_and_b32_e32 v51, 1, v0                                   // 0000000038BC: 26660081
	v_add_u32_e32 v4, v51, v4                                  // 0000000038C0: 68080933
	s_mul_i32 s60, s7, 2                                       // 0000000038C4: 923C8207
	v_add_u32_e32 v4, s60, v4                                  // 0000000038C8: 6808083C
	v_lshlrev_b32_e32 v4, 2, v4                                // 0000000038CC: 24080882
	s_waitcnt vmcnt(24)                                        // 0000000038D0: BF8C4F78
	s_barrier                                                  // 0000000038D4: BF8A0000
	ds_read_b128 v[176:179], v2                                // 0000000038D8: D9FE0000 B0000002
	ds_read_b128 v[180:183], v2 offset:64                      // 0000000038E0: D9FE0040 B4000002
	ds_read_b128 v[184:187], v2 offset:128                     // 0000000038E8: D9FE0080 B8000002
	ds_read_b128 v[188:191], v2 offset:192                     // 0000000038F0: D9FE00C0 BC000002
	ds_read_b128 v[192:195], v2 offset:1024                    // 0000000038F8: D9FE0400 C0000002
	ds_read_b128 v[196:199], v2 offset:1088                    // 000000003900: D9FE0440 C4000002
	ds_read_b128 v[200:203], v2 offset:1152                    // 000000003908: D9FE0480 C8000002
	ds_read_b128 v[204:207], v2 offset:1216                    // 000000003910: D9FE04C0 CC000002
	s_cmp_lt_i32 s7, 2                                         // 000000003918: BF048207
	s_cbranch_scc0 label_116F                                  // 00000000391C: BF840EA7

0000000000003920 <label_02C8>:
	s_waitcnt vmcnt(16) lgkmcnt(0)                             // 000000003920: BF8C4070
	s_barrier                                                  // 000000003924: BF8A0000
	v_mfma_f32_16x16x32_fp8_fp8 v[128:131], a[0:1], v[176:177], v[128:131]// 000000003928: D3F30080 0E036100
	v_mfma_f32_16x16x32_fp8_fp8 v[128:131], a[2:3], v[178:179], v[128:131]// 000000003930: D3F30080 0E036502
	buffer_load_dwordx4 a[96:99], v34, s[92:95], 0 offen       // 000000003938: E05C1000 80976022
	v_mfma_f32_16x16x32_fp8_fp8 v[128:131], a[4:5], v[180:181], v[128:131]// 000000003940: D3F30080 0E036904
	v_mfma_f32_16x16x32_fp8_fp8 v[128:131], a[6:7], v[182:183], v[128:131]// 000000003948: D3F30080 0E036D06
	buffer_load_dword v26, s[20:23], 0 offen lds               // 000000003950: E0511000 8005001A
	s_add_u32 m0, 0x100, s51                                   // 000000003958: 807C33FF 00000100
	v_mfma_f32_16x16x32_fp8_fp8 v[128:131], a[8:9], v[184:185], v[128:131]// 000000003960: D3F30080 0E037108
	v_mfma_f32_16x16x32_fp8_fp8 v[128:131], a[10:11], v[186:187], v[128:131]// 000000003968: D3F30080 0E03750A
	buffer_load_dwordx4 a[100:103], v34, s[92:95], 0 offen offset:1024// 000000003970: E05C1400 80976422
	v_mfma_f32_16x16x32_fp8_fp8 v[128:131], a[12:13], v[188:189], v[128:131]// 000000003978: D3F30080 0E03790C
	v_mfma_f32_16x16x32_fp8_fp8 v[128:131], a[14:15], v[190:191], v[128:131]// 000000003980: D3F30080 0E037D0E
	buffer_load_dword v27, s[20:23], 0 offen lds               // 000000003988: E0511000 8005001B
	s_add_u32 m0, 0x200, s51                                   // 000000003990: 807C33FF 00000200
	v_mfma_f32_16x16x32_fp8_fp8 v[132:135], a[0:1], v[192:193], v[132:135]// 000000003998: D3F30084 0E138100
	v_mfma_f32_16x16x32_fp8_fp8 v[132:135], a[2:3], v[194:195], v[132:135]// 0000000039A0: D3F30084 0E138502
	buffer_load_dwordx4 a[104:107], v34, s[92:95], 0 offen offset:2048// 0000000039A8: E05C1800 80976822
	v_mfma_f32_16x16x32_fp8_fp8 v[132:135], a[4:5], v[196:197], v[132:135]// 0000000039B0: D3F30084 0E138904
	v_mfma_f32_16x16x32_fp8_fp8 v[132:135], a[6:7], v[198:199], v[132:135]// 0000000039B8: D3F30084 0E138D06
	buffer_load_dword v28, s[20:23], 0 offen lds               // 0000000039C0: E0511000 8005001C
	s_add_u32 m0, 0x300, s51                                   // 0000000039C8: 807C33FF 00000300
	v_mfma_f32_16x16x32_fp8_fp8 v[132:135], a[8:9], v[200:201], v[132:135]// 0000000039D0: D3F30084 0E139108
	v_mfma_f32_16x16x32_fp8_fp8 v[132:135], a[10:11], v[202:203], v[132:135]// 0000000039D8: D3F30084 0E13950A
	buffer_load_dwordx4 a[108:111], v34, s[92:95], 0 offen offset:3072// 0000000039E0: E05C1C00 80976C22
	v_mfma_f32_16x16x32_fp8_fp8 v[132:135], a[12:13], v[204:205], v[132:135]// 0000000039E8: D3F30084 0E13990C
	v_mfma_f32_16x16x32_fp8_fp8 v[132:135], a[14:15], v[206:207], v[132:135]// 0000000039F0: D3F30084 0E139D0E
	buffer_load_dword v29, s[20:23], 0 offen lds               // 0000000039F8: E0511000 8005001D
	s_add_u32 m0, 0x400, s51                                   // 000000003A00: 807C33FF 00000400
	v_mfma_f32_16x16x32_fp8_fp8 v[136:139], a[16:17], v[176:177], v[136:139]// 000000003A08: D3F30088 0E236110
	v_mfma_f32_16x16x32_fp8_fp8 v[136:139], a[18:19], v[178:179], v[136:139]// 000000003A10: D3F30088 0E236512
	buffer_load_dwordx4 a[112:115], v35, s[92:95], 0 offen     // 000000003A18: E05C1000 80977023
	v_mfma_f32_16x16x32_fp8_fp8 v[136:139], a[20:21], v[180:181], v[136:139]// 000000003A20: D3F30088 0E236914
	v_mfma_f32_16x16x32_fp8_fp8 v[136:139], a[22:23], v[182:183], v[136:139]// 000000003A28: D3F30088 0E236D16
	buffer_load_dword v30, s[20:23], 0 offen lds               // 000000003A30: E0511000 8005001E
	s_add_u32 m0, 0x500, s51                                   // 000000003A38: 807C33FF 00000500
	v_mfma_f32_16x16x32_fp8_fp8 v[136:139], a[24:25], v[184:185], v[136:139]// 000000003A40: D3F30088 0E237118
	v_mfma_f32_16x16x32_fp8_fp8 v[136:139], a[26:27], v[186:187], v[136:139]// 000000003A48: D3F30088 0E23751A
	buffer_load_dwordx4 a[116:119], v35, s[92:95], 0 offen offset:1024// 000000003A50: E05C1400 80977423
	v_mfma_f32_16x16x32_fp8_fp8 v[136:139], a[28:29], v[188:189], v[136:139]// 000000003A58: D3F30088 0E23791C
	v_mfma_f32_16x16x32_fp8_fp8 v[136:139], a[30:31], v[190:191], v[136:139]// 000000003A60: D3F30088 0E237D1E
	buffer_load_dword v31, s[20:23], 0 offen lds               // 000000003A68: E0511000 8005001F
	s_add_u32 m0, 0x600, s51                                   // 000000003A70: 807C33FF 00000600
	v_mfma_f32_16x16x32_fp8_fp8 v[140:143], a[16:17], v[192:193], v[140:143]// 000000003A78: D3F3008C 0E338110
	v_mfma_f32_16x16x32_fp8_fp8 v[140:143], a[18:19], v[194:195], v[140:143]// 000000003A80: D3F3008C 0E338512
	buffer_load_dwordx4 a[120:123], v35, s[92:95], 0 offen offset:2048// 000000003A88: E05C1800 80977823
	v_mfma_f32_16x16x32_fp8_fp8 v[140:143], a[20:21], v[196:197], v[140:143]// 000000003A90: D3F3008C 0E338914
	v_mfma_f32_16x16x32_fp8_fp8 v[140:143], a[22:23], v[198:199], v[140:143]// 000000003A98: D3F3008C 0E338D16
	buffer_load_dword v32, s[20:23], 0 offen lds               // 000000003AA0: E0511000 80050020
	s_add_u32 m0, 0x700, s51                                   // 000000003AA8: 807C33FF 00000700
	v_mfma_f32_16x16x32_fp8_fp8 v[140:143], a[24:25], v[200:201], v[140:143]// 000000003AB0: D3F3008C 0E339118
	v_mfma_f32_16x16x32_fp8_fp8 v[140:143], a[26:27], v[202:203], v[140:143]// 000000003AB8: D3F3008C 0E33951A
	buffer_load_dwordx4 a[124:127], v35, s[92:95], 0 offen offset:3072// 000000003AC0: E05C1C00 80977C23
	v_mfma_f32_16x16x32_fp8_fp8 v[140:143], a[28:29], v[204:205], v[140:143]// 000000003AC8: D3F3008C 0E33991C
	v_mfma_f32_16x16x32_fp8_fp8 v[140:143], a[30:31], v[206:207], v[140:143]// 000000003AD0: D3F3008C 0E339D1E
	buffer_load_dword v33, s[20:23], 0 offen lds               // 000000003AD8: E0511000 80050021
	s_add_u32 m0, 0, s50                                       // 000000003AE0: 807C3280
	s_waitcnt vmcnt(28)                                        // 000000003AE4: BF8C4F7C
	v_mfma_f32_16x16x32_fp8_fp8 v[144:147], a[32:33], v[176:177], v[144:147]// 000000003AE8: D3F30090 0E436120
	v_mfma_f32_16x16x32_fp8_fp8 v[144:147], a[34:35], v[178:179], v[144:147]// 000000003AF0: D3F30090 0E436522
	buffer_load_dwordx4 a[128:131], v36, s[92:95], 0 offen     // 000000003AF8: E05C1000 80978024
	v_mfma_f32_16x16x32_fp8_fp8 v[144:147], a[36:37], v[180:181], v[144:147]// 000000003B00: D3F30090 0E436924
	v_mfma_f32_16x16x32_fp8_fp8 v[144:147], a[38:39], v[182:183], v[144:147]// 000000003B08: D3F30090 0E436D26
	v_mfma_f32_16x16x32_fp8_fp8 v[144:147], a[40:41], v[184:185], v[144:147]// 000000003B10: D3F30090 0E437128
	v_mfma_f32_16x16x32_fp8_fp8 v[144:147], a[42:43], v[186:187], v[144:147]// 000000003B18: D3F30090 0E43752A
	buffer_load_dwordx4 a[132:135], v36, s[92:95], 0 offen offset:1024// 000000003B20: E05C1400 80978424
	v_mfma_f32_16x16x32_fp8_fp8 v[144:147], a[44:45], v[188:189], v[144:147]// 000000003B28: D3F30090 0E43792C
	v_mfma_f32_16x16x32_fp8_fp8 v[144:147], a[46:47], v[190:191], v[144:147]// 000000003B30: D3F30090 0E437D2E
	v_mfma_f32_16x16x32_fp8_fp8 v[148:151], a[32:33], v[192:193], v[148:151]// 000000003B38: D3F30094 0E538120
	v_mfma_f32_16x16x32_fp8_fp8 v[148:151], a[34:35], v[194:195], v[148:151]// 000000003B40: D3F30094 0E538522
	buffer_load_dwordx4 a[136:139], v36, s[92:95], 0 offen offset:2048// 000000003B48: E05C1800 80978824
	v_mfma_f32_16x16x32_fp8_fp8 v[148:151], a[36:37], v[196:197], v[148:151]// 000000003B50: D3F30094 0E538924
	v_mfma_f32_16x16x32_fp8_fp8 v[148:151], a[38:39], v[198:199], v[148:151]// 000000003B58: D3F30094 0E538D26
	v_mfma_f32_16x16x32_fp8_fp8 v[148:151], a[40:41], v[200:201], v[148:151]// 000000003B60: D3F30094 0E539128
	v_mfma_f32_16x16x32_fp8_fp8 v[148:151], a[42:43], v[202:203], v[148:151]// 000000003B68: D3F30094 0E53952A
	buffer_load_dwordx4 a[140:143], v36, s[92:95], 0 offen offset:3072// 000000003B70: E05C1C00 80978C24
	v_mfma_f32_16x16x32_fp8_fp8 v[148:151], a[44:45], v[204:205], v[148:151]// 000000003B78: D3F30094 0E53992C
	v_mfma_f32_16x16x32_fp8_fp8 v[148:151], a[46:47], v[206:207], v[148:151]// 000000003B80: D3F30094 0E539D2E
	s_waitcnt vmcnt(28)                                        // 000000003B88: BF8C4F7C
	v_mfma_f32_16x16x32_fp8_fp8 v[152:155], a[48:49], v[176:177], v[152:155]// 000000003B8C: D3F30098 0E636130
	v_mfma_f32_16x16x32_fp8_fp8 v[152:155], a[50:51], v[178:179], v[152:155]// 000000003B94: D3F30098 0E636532
	buffer_load_dwordx4 a[144:147], v37, s[92:95], 0 offen     // 000000003B9C: E05C1000 80979025
	v_mfma_f32_16x16x32_fp8_fp8 v[152:155], a[52:53], v[180:181], v[152:155]// 000000003BA4: D3F30098 0E636934
	v_mfma_f32_16x16x32_fp8_fp8 v[152:155], a[54:55], v[182:183], v[152:155]// 000000003BAC: D3F30098 0E636D36
	v_mfma_f32_16x16x32_fp8_fp8 v[152:155], a[56:57], v[184:185], v[152:155]// 000000003BB4: D3F30098 0E637138
	v_mfma_f32_16x16x32_fp8_fp8 v[152:155], a[58:59], v[186:187], v[152:155]// 000000003BBC: D3F30098 0E63753A
	buffer_load_dwordx4 a[148:151], v37, s[92:95], 0 offen offset:1024// 000000003BC4: E05C1400 80979425
	v_mfma_f32_16x16x32_fp8_fp8 v[152:155], a[60:61], v[188:189], v[152:155]// 000000003BCC: D3F30098 0E63793C
	v_mfma_f32_16x16x32_fp8_fp8 v[152:155], a[62:63], v[190:191], v[152:155]// 000000003BD4: D3F30098 0E637D3E
	v_mfma_f32_16x16x32_fp8_fp8 v[156:159], a[48:49], v[192:193], v[156:159]// 000000003BDC: D3F3009C 0E738130
	v_mfma_f32_16x16x32_fp8_fp8 v[156:159], a[50:51], v[194:195], v[156:159]// 000000003BE4: D3F3009C 0E738532
	buffer_load_dwordx4 a[152:155], v37, s[92:95], 0 offen offset:2048// 000000003BEC: E05C1800 80979825
	v_mfma_f32_16x16x32_fp8_fp8 v[156:159], a[52:53], v[196:197], v[156:159]// 000000003BF4: D3F3009C 0E738934
	v_mfma_f32_16x16x32_fp8_fp8 v[156:159], a[54:55], v[198:199], v[156:159]// 000000003BFC: D3F3009C 0E738D36
	v_mfma_f32_16x16x32_fp8_fp8 v[156:159], a[56:57], v[200:201], v[156:159]// 000000003C04: D3F3009C 0E739138
	v_mfma_f32_16x16x32_fp8_fp8 v[156:159], a[58:59], v[202:203], v[156:159]// 000000003C0C: D3F3009C 0E73953A
	buffer_load_dwordx4 a[156:159], v37, s[92:95], 0 offen offset:3072// 000000003C14: E05C1C00 80979C25
	v_mfma_f32_16x16x32_fp8_fp8 v[156:159], a[60:61], v[204:205], v[156:159]// 000000003C1C: D3F3009C 0E73993C
	v_mfma_f32_16x16x32_fp8_fp8 v[156:159], a[62:63], v[206:207], v[156:159]// 000000003C24: D3F3009C 0E739D3E
	s_waitcnt vmcnt(28)                                        // 000000003C2C: BF8C4F7C
	v_mfma_f32_16x16x32_fp8_fp8 v[160:163], a[64:65], v[176:177], v[160:163]// 000000003C30: D3F300A0 0E836140
	v_mfma_f32_16x16x32_fp8_fp8 v[160:163], a[66:67], v[178:179], v[160:163]// 000000003C38: D3F300A0 0E836542
	buffer_load_dwordx4 a[160:163], v38, s[92:95], 0 offen     // 000000003C40: E05C1000 8097A026
	v_mfma_f32_16x16x32_fp8_fp8 v[160:163], a[68:69], v[180:181], v[160:163]// 000000003C48: D3F300A0 0E836944
	v_mfma_f32_16x16x32_fp8_fp8 v[160:163], a[70:71], v[182:183], v[160:163]// 000000003C50: D3F300A0 0E836D46
	v_mfma_f32_16x16x32_fp8_fp8 v[160:163], a[72:73], v[184:185], v[160:163]// 000000003C58: D3F300A0 0E837148
	v_mfma_f32_16x16x32_fp8_fp8 v[160:163], a[74:75], v[186:187], v[160:163]// 000000003C60: D3F300A0 0E83754A
	buffer_load_dwordx4 a[164:167], v38, s[92:95], 0 offen offset:1024// 000000003C68: E05C1400 8097A426
	v_mfma_f32_16x16x32_fp8_fp8 v[160:163], a[76:77], v[188:189], v[160:163]// 000000003C70: D3F300A0 0E83794C
	v_mfma_f32_16x16x32_fp8_fp8 v[160:163], a[78:79], v[190:191], v[160:163]// 000000003C78: D3F300A0 0E837D4E
	v_mfma_f32_16x16x32_fp8_fp8 v[164:167], a[64:65], v[192:193], v[164:167]// 000000003C80: D3F300A4 0E938140
	v_mfma_f32_16x16x32_fp8_fp8 v[164:167], a[66:67], v[194:195], v[164:167]// 000000003C88: D3F300A4 0E938542
	buffer_load_dwordx4 a[168:171], v38, s[92:95], 0 offen offset:2048// 000000003C90: E05C1800 8097A826
	v_mfma_f32_16x16x32_fp8_fp8 v[164:167], a[68:69], v[196:197], v[164:167]// 000000003C98: D3F300A4 0E938944
	v_mfma_f32_16x16x32_fp8_fp8 v[164:167], a[70:71], v[198:199], v[164:167]// 000000003CA0: D3F300A4 0E938D46
	v_mfma_f32_16x16x32_fp8_fp8 v[164:167], a[72:73], v[200:201], v[164:167]// 000000003CA8: D3F300A4 0E939148
	v_mfma_f32_16x16x32_fp8_fp8 v[164:167], a[74:75], v[202:203], v[164:167]// 000000003CB0: D3F300A4 0E93954A
	buffer_load_dwordx4 a[172:175], v38, s[92:95], 0 offen offset:3072// 000000003CB8: E05C1C00 8097AC26
	v_mfma_f32_16x16x32_fp8_fp8 v[164:167], a[76:77], v[204:205], v[164:167]// 000000003CC0: D3F300A4 0E93994C
	v_mfma_f32_16x16x32_fp8_fp8 v[164:167], a[78:79], v[206:207], v[164:167]// 000000003CC8: D3F300A4 0E939D4E
	s_waitcnt vmcnt(28)                                        // 000000003CD0: BF8C4F7C
	v_mfma_f32_16x16x32_fp8_fp8 v[168:171], a[80:81], v[176:177], v[168:171]// 000000003CD4: D3F300A8 0EA36150
	v_mfma_f32_16x16x32_fp8_fp8 v[168:171], a[82:83], v[178:179], v[168:171]// 000000003CDC: D3F300A8 0EA36552
	buffer_load_dwordx4 a[176:179], v39, s[92:95], 0 offen     // 000000003CE4: E05C1000 8097B027
	v_mfma_f32_16x16x32_fp8_fp8 v[168:171], a[84:85], v[180:181], v[168:171]// 000000003CEC: D3F300A8 0EA36954
	v_mfma_f32_16x16x32_fp8_fp8 v[168:171], a[86:87], v[182:183], v[168:171]// 000000003CF4: D3F300A8 0EA36D56
	v_mfma_f32_16x16x32_fp8_fp8 v[168:171], a[88:89], v[184:185], v[168:171]// 000000003CFC: D3F300A8 0EA37158
	v_mfma_f32_16x16x32_fp8_fp8 v[168:171], a[90:91], v[186:187], v[168:171]// 000000003D04: D3F300A8 0EA3755A
	buffer_load_dwordx4 a[180:183], v39, s[92:95], 0 offen offset:1024// 000000003D0C: E05C1400 8097B427
	v_mfma_f32_16x16x32_fp8_fp8 v[168:171], a[92:93], v[188:189], v[168:171]// 000000003D14: D3F300A8 0EA3795C
	v_mfma_f32_16x16x32_fp8_fp8 v[168:171], a[94:95], v[190:191], v[168:171]// 000000003D1C: D3F300A8 0EA37D5E
	v_mfma_f32_16x16x32_fp8_fp8 v[172:175], a[80:81], v[192:193], v[172:175]// 000000003D24: D3F300AC 0EB38150
	v_mfma_f32_16x16x32_fp8_fp8 v[172:175], a[82:83], v[194:195], v[172:175]// 000000003D2C: D3F300AC 0EB38552
	buffer_load_dwordx4 a[184:187], v39, s[92:95], 0 offen offset:2048// 000000003D34: E05C1800 8097B827
	v_mfma_f32_16x16x32_fp8_fp8 v[172:175], a[84:85], v[196:197], v[172:175]// 000000003D3C: D3F300AC 0EB38954
	v_mfma_f32_16x16x32_fp8_fp8 v[172:175], a[86:87], v[198:199], v[172:175]// 000000003D44: D3F300AC 0EB38D56
	v_mfma_f32_16x16x32_fp8_fp8 v[172:175], a[88:89], v[200:201], v[172:175]// 000000003D4C: D3F300AC 0EB39158
	v_mfma_f32_16x16x32_fp8_fp8 v[172:175], a[90:91], v[202:203], v[172:175]// 000000003D54: D3F300AC 0EB3955A
	buffer_load_dwordx4 a[188:191], v39, s[92:95], 0 offen offset:3072// 000000003D5C: E05C1C00 8097BC27
	v_mfma_f32_16x16x32_fp8_fp8 v[172:175], a[92:93], v[204:205], v[172:175]// 000000003D64: D3F300AC 0EB3995C
	v_mfma_f32_16x16x32_fp8_fp8 v[172:175], a[94:95], v[206:207], v[172:175]// 000000003D6C: D3F300AC 0EB39D5E
	s_waitcnt vmcnt(16)                                        // 000000003D74: BF8C4F70
	s_barrier                                                  // 000000003D78: BF8A0000
	v_mfma_f32_16x16x32_fp8_fp8 v[64:67], a[96:97], v[176:177], v[64:67]// 000000003D7C: D3F30040 0D036160
	v_mfma_f32_16x16x32_fp8_fp8 v[64:67], a[98:99], v[178:179], v[64:67]// 000000003D84: D3F30040 0D036562
	buffer_load_dwordx4 a[0:3], v34, s[24:27], 0 offen         // 000000003D8C: E05C1000 80860022
	v_mfma_f32_16x16x32_fp8_fp8 v[64:67], a[100:101], v[180:181], v[64:67]// 000000003D94: D3F30040 0D036964
	v_mfma_f32_16x16x32_fp8_fp8 v[64:67], a[102:103], v[182:183], v[64:67]// 000000003D9C: D3F30040 0D036D66
	v_mfma_f32_16x16x32_fp8_fp8 v[64:67], a[104:105], v[184:185], v[64:67]// 000000003DA4: D3F30040 0D037168
	v_mfma_f32_16x16x32_fp8_fp8 v[64:67], a[106:107], v[186:187], v[64:67]// 000000003DAC: D3F30040 0D03756A
	buffer_load_dwordx4 a[4:7], v34, s[24:27], 0 offen offset:1024// 000000003DB4: E05C1400 80860422
	v_mfma_f32_16x16x32_fp8_fp8 v[64:67], a[108:109], v[188:189], v[64:67]// 000000003DBC: D3F30040 0D03796C
	v_mfma_f32_16x16x32_fp8_fp8 v[64:67], a[110:111], v[190:191], v[64:67]// 000000003DC4: D3F30040 0D037D6E
	v_mfma_f32_16x16x32_fp8_fp8 v[68:71], a[96:97], v[192:193], v[68:71]// 000000003DCC: D3F30044 0D138160
	v_mfma_f32_16x16x32_fp8_fp8 v[68:71], a[98:99], v[194:195], v[68:71]// 000000003DD4: D3F30044 0D138562
	buffer_load_dwordx4 a[8:11], v34, s[24:27], 0 offen offset:2048// 000000003DDC: E05C1800 80860822
	v_mfma_f32_16x16x32_fp8_fp8 v[68:71], a[100:101], v[196:197], v[68:71]// 000000003DE4: D3F30044 0D138964
	v_mfma_f32_16x16x32_fp8_fp8 v[68:71], a[102:103], v[198:199], v[68:71]// 000000003DEC: D3F30044 0D138D66
	v_mfma_f32_16x16x32_fp8_fp8 v[68:71], a[104:105], v[200:201], v[68:71]// 000000003DF4: D3F30044 0D139168
	v_mfma_f32_16x16x32_fp8_fp8 v[68:71], a[106:107], v[202:203], v[68:71]// 000000003DFC: D3F30044 0D13956A
	buffer_load_dwordx4 a[12:15], v34, s[24:27], 0 offen offset:3072// 000000003E04: E05C1C00 80860C22
	v_mfma_f32_16x16x32_fp8_fp8 v[68:71], a[108:109], v[204:205], v[68:71]// 000000003E0C: D3F30044 0D13996C
	v_mfma_f32_16x16x32_fp8_fp8 v[68:71], a[110:111], v[206:207], v[68:71]// 000000003E14: D3F30044 0D139D6E
	v_mfma_f32_16x16x32_fp8_fp8 v[72:75], a[112:113], v[176:177], v[72:75]// 000000003E1C: D3F30048 0D236170
	v_mfma_f32_16x16x32_fp8_fp8 v[72:75], a[114:115], v[178:179], v[72:75]// 000000003E24: D3F30048 0D236572
	buffer_load_dwordx4 a[16:19], v35, s[24:27], 0 offen       // 000000003E2C: E05C1000 80861023
	v_mfma_f32_16x16x32_fp8_fp8 v[72:75], a[116:117], v[180:181], v[72:75]// 000000003E34: D3F30048 0D236974
	v_mfma_f32_16x16x32_fp8_fp8 v[72:75], a[118:119], v[182:183], v[72:75]// 000000003E3C: D3F30048 0D236D76
	v_mfma_f32_16x16x32_fp8_fp8 v[72:75], a[120:121], v[184:185], v[72:75]// 000000003E44: D3F30048 0D237178
	v_mfma_f32_16x16x32_fp8_fp8 v[72:75], a[122:123], v[186:187], v[72:75]// 000000003E4C: D3F30048 0D23757A
	buffer_load_dwordx4 a[20:23], v35, s[24:27], 0 offen offset:1024// 000000003E54: E05C1400 80861423
	v_mfma_f32_16x16x32_fp8_fp8 v[72:75], a[124:125], v[188:189], v[72:75]// 000000003E5C: D3F30048 0D23797C
	v_mfma_f32_16x16x32_fp8_fp8 v[72:75], a[126:127], v[190:191], v[72:75]// 000000003E64: D3F30048 0D237D7E
	v_mfma_f32_16x16x32_fp8_fp8 v[76:79], a[112:113], v[192:193], v[76:79]// 000000003E6C: D3F3004C 0D338170
	v_mfma_f32_16x16x32_fp8_fp8 v[76:79], a[114:115], v[194:195], v[76:79]// 000000003E74: D3F3004C 0D338572
	buffer_load_dwordx4 a[24:27], v35, s[24:27], 0 offen offset:2048// 000000003E7C: E05C1800 80861823
	v_mfma_f32_16x16x32_fp8_fp8 v[76:79], a[116:117], v[196:197], v[76:79]// 000000003E84: D3F3004C 0D338974
	v_mfma_f32_16x16x32_fp8_fp8 v[76:79], a[118:119], v[198:199], v[76:79]// 000000003E8C: D3F3004C 0D338D76
	v_mfma_f32_16x16x32_fp8_fp8 v[76:79], a[120:121], v[200:201], v[76:79]// 000000003E94: D3F3004C 0D339178
	v_mfma_f32_16x16x32_fp8_fp8 v[76:79], a[122:123], v[202:203], v[76:79]// 000000003E9C: D3F3004C 0D33957A
	buffer_load_dwordx4 a[28:31], v35, s[24:27], 0 offen offset:3072// 000000003EA4: E05C1C00 80861C23
	v_mfma_f32_16x16x32_fp8_fp8 v[76:79], a[124:125], v[204:205], v[76:79]// 000000003EAC: D3F3004C 0D33997C
	v_mfma_f32_16x16x32_fp8_fp8 v[76:79], a[126:127], v[206:207], v[76:79]// 000000003EB4: D3F3004C 0D339D7E
	s_waitcnt vmcnt(20)                                        // 000000003EBC: BF8C4F74
	v_mfma_f32_16x16x32_fp8_fp8 v[80:83], a[128:129], v[176:177], v[80:83]// 000000003EC0: D3F30050 0D436180
	v_mfma_f32_16x16x32_fp8_fp8 v[80:83], a[130:131], v[178:179], v[80:83]// 000000003EC8: D3F30050 0D436582
	buffer_load_dwordx4 a[32:35], v36, s[24:27], 0 offen       // 000000003ED0: E05C1000 80862024
	v_mfma_f32_16x16x32_fp8_fp8 v[80:83], a[132:133], v[180:181], v[80:83]// 000000003ED8: D3F30050 0D436984
	v_mfma_f32_16x16x32_fp8_fp8 v[80:83], a[134:135], v[182:183], v[80:83]// 000000003EE0: D3F30050 0D436D86
	ds_read_b128 v[208:211], v2 offset:8320                    // 000000003EE8: D9FE2080 D0000002
	v_mfma_f32_16x16x32_fp8_fp8 v[80:83], a[136:137], v[184:185], v[80:83]// 000000003EF0: D3F30050 0D437188
	v_mfma_f32_16x16x32_fp8_fp8 v[80:83], a[138:139], v[186:187], v[80:83]// 000000003EF8: D3F30050 0D43758A
	buffer_load_dwordx4 a[36:39], v36, s[24:27], 0 offen offset:1024// 000000003F00: E05C1400 80862424
	v_mfma_f32_16x16x32_fp8_fp8 v[80:83], a[140:141], v[188:189], v[80:83]// 000000003F08: D3F30050 0D43798C
	v_mfma_f32_16x16x32_fp8_fp8 v[80:83], a[142:143], v[190:191], v[80:83]// 000000003F10: D3F30050 0D437D8E
	ds_read_b128 v[212:215], v2 offset:8384                    // 000000003F18: D9FE20C0 D4000002
	v_mfma_f32_16x16x32_fp8_fp8 v[84:87], a[128:129], v[192:193], v[84:87]// 000000003F20: D3F30054 0D538180
	v_mfma_f32_16x16x32_fp8_fp8 v[84:87], a[130:131], v[194:195], v[84:87]// 000000003F28: D3F30054 0D538582
	buffer_load_dwordx4 a[40:43], v36, s[24:27], 0 offen offset:2048// 000000003F30: E05C1800 80862824
	v_mfma_f32_16x16x32_fp8_fp8 v[84:87], a[132:133], v[196:197], v[84:87]// 000000003F38: D3F30054 0D538984
	v_mfma_f32_16x16x32_fp8_fp8 v[84:87], a[134:135], v[198:199], v[84:87]// 000000003F40: D3F30054 0D538D86
	ds_read_b128 v[216:219], v2 offset:8448                    // 000000003F48: D9FE2100 D8000002
	v_mfma_f32_16x16x32_fp8_fp8 v[84:87], a[136:137], v[200:201], v[84:87]// 000000003F50: D3F30054 0D539188
	v_mfma_f32_16x16x32_fp8_fp8 v[84:87], a[138:139], v[202:203], v[84:87]// 000000003F58: D3F30054 0D53958A
	buffer_load_dwordx4 a[44:47], v36, s[24:27], 0 offen offset:3072// 000000003F60: E05C1C00 80862C24
	v_mfma_f32_16x16x32_fp8_fp8 v[84:87], a[140:141], v[204:205], v[84:87]// 000000003F68: D3F30054 0D53998C
	v_mfma_f32_16x16x32_fp8_fp8 v[84:87], a[142:143], v[206:207], v[84:87]// 000000003F70: D3F30054 0D539D8E
	ds_read_b128 v[220:223], v2 offset:8512                    // 000000003F78: D9FE2140 DC000002
	s_waitcnt vmcnt(20)                                        // 000000003F80: BF8C4F74
	v_mfma_f32_16x16x32_fp8_fp8 v[88:91], a[144:145], v[176:177], v[88:91]// 000000003F84: D3F30058 0D636190
	v_mfma_f32_16x16x32_fp8_fp8 v[88:91], a[146:147], v[178:179], v[88:91]// 000000003F8C: D3F30058 0D636592
	buffer_load_dwordx4 a[48:51], v37, s[24:27], 0 offen       // 000000003F94: E05C1000 80863025
	v_mfma_f32_16x16x32_fp8_fp8 v[88:91], a[148:149], v[180:181], v[88:91]// 000000003F9C: D3F30058 0D636994
	v_mfma_f32_16x16x32_fp8_fp8 v[88:91], a[150:151], v[182:183], v[88:91]// 000000003FA4: D3F30058 0D636D96
	ds_read_b128 v[224:227], v2 offset:9344                    // 000000003FAC: D9FE2480 E0000002
	v_mfma_f32_16x16x32_fp8_fp8 v[88:91], a[152:153], v[184:185], v[88:91]// 000000003FB4: D3F30058 0D637198
	v_mfma_f32_16x16x32_fp8_fp8 v[88:91], a[154:155], v[186:187], v[88:91]// 000000003FBC: D3F30058 0D63759A
	buffer_load_dwordx4 a[52:55], v37, s[24:27], 0 offen offset:1024// 000000003FC4: E05C1400 80863425
	v_mfma_f32_16x16x32_fp8_fp8 v[88:91], a[156:157], v[188:189], v[88:91]// 000000003FCC: D3F30058 0D63799C
	v_mfma_f32_16x16x32_fp8_fp8 v[88:91], a[158:159], v[190:191], v[88:91]// 000000003FD4: D3F30058 0D637D9E
	ds_read_b128 v[228:231], v2 offset:9408                    // 000000003FDC: D9FE24C0 E4000002
	v_mfma_f32_16x16x32_fp8_fp8 v[92:95], a[144:145], v[192:193], v[92:95]// 000000003FE4: D3F3005C 0D738190
	v_mfma_f32_16x16x32_fp8_fp8 v[92:95], a[146:147], v[194:195], v[92:95]// 000000003FEC: D3F3005C 0D738592
	buffer_load_dwordx4 a[56:59], v37, s[24:27], 0 offen offset:2048// 000000003FF4: E05C1800 80863825
	v_mfma_f32_16x16x32_fp8_fp8 v[92:95], a[148:149], v[196:197], v[92:95]// 000000003FFC: D3F3005C 0D738994
	v_mfma_f32_16x16x32_fp8_fp8 v[92:95], a[150:151], v[198:199], v[92:95]// 000000004004: D3F3005C 0D738D96
	ds_read_b128 v[232:235], v2 offset:9472                    // 00000000400C: D9FE2500 E8000002
	v_mfma_f32_16x16x32_fp8_fp8 v[92:95], a[152:153], v[200:201], v[92:95]// 000000004014: D3F3005C 0D739198
	v_mfma_f32_16x16x32_fp8_fp8 v[92:95], a[154:155], v[202:203], v[92:95]// 00000000401C: D3F3005C 0D73959A
	buffer_load_dwordx4 a[60:63], v37, s[24:27], 0 offen offset:3072// 000000004024: E05C1C00 80863C25
	v_mfma_f32_16x16x32_fp8_fp8 v[92:95], a[156:157], v[204:205], v[92:95]// 00000000402C: D3F3005C 0D73999C
	v_mfma_f32_16x16x32_fp8_fp8 v[92:95], a[158:159], v[206:207], v[92:95]// 000000004034: D3F3005C 0D739D9E
	ds_read_b128 v[236:239], v2 offset:9536                    // 00000000403C: D9FE2540 EC000002
	s_waitcnt vmcnt(20)                                        // 000000004044: BF8C4F74
	v_mfma_f32_16x16x32_fp8_fp8 v[96:99], a[160:161], v[176:177], v[96:99]// 000000004048: D3F30060 0D8361A0
	v_mfma_f32_16x16x32_fp8_fp8 v[96:99], a[162:163], v[178:179], v[96:99]// 000000004050: D3F30060 0D8365A2
	buffer_load_dwordx4 a[64:67], v38, s[24:27], 0 offen       // 000000004058: E05C1000 80864026
	v_mfma_f32_16x16x32_fp8_fp8 v[96:99], a[164:165], v[180:181], v[96:99]// 000000004060: D3F30060 0D8369A4
	v_mfma_f32_16x16x32_fp8_fp8 v[96:99], a[166:167], v[182:183], v[96:99]// 000000004068: D3F30060 0D836DA6
	v_mfma_f32_16x16x32_fp8_fp8 v[96:99], a[168:169], v[184:185], v[96:99]// 000000004070: D3F30060 0D8371A8
	v_mfma_f32_16x16x32_fp8_fp8 v[96:99], a[170:171], v[186:187], v[96:99]// 000000004078: D3F30060 0D8375AA
	buffer_load_dwordx4 a[68:71], v38, s[24:27], 0 offen offset:1024// 000000004080: E05C1400 80864426
	v_mfma_f32_16x16x32_fp8_fp8 v[96:99], a[172:173], v[188:189], v[96:99]// 000000004088: D3F30060 0D8379AC
	v_mfma_f32_16x16x32_fp8_fp8 v[96:99], a[174:175], v[190:191], v[96:99]// 000000004090: D3F30060 0D837DAE
	v_mfma_f32_16x16x32_fp8_fp8 v[100:103], a[160:161], v[192:193], v[100:103]// 000000004098: D3F30064 0D9381A0
	v_mfma_f32_16x16x32_fp8_fp8 v[100:103], a[162:163], v[194:195], v[100:103]// 0000000040A0: D3F30064 0D9385A2
	buffer_load_dwordx4 a[72:75], v38, s[24:27], 0 offen offset:2048// 0000000040A8: E05C1800 80864826
	v_mfma_f32_16x16x32_fp8_fp8 v[100:103], a[164:165], v[196:197], v[100:103]// 0000000040B0: D3F30064 0D9389A4
	v_mfma_f32_16x16x32_fp8_fp8 v[100:103], a[166:167], v[198:199], v[100:103]// 0000000040B8: D3F30064 0D938DA6
	v_mfma_f32_16x16x32_fp8_fp8 v[100:103], a[168:169], v[200:201], v[100:103]// 0000000040C0: D3F30064 0D9391A8
	v_mfma_f32_16x16x32_fp8_fp8 v[100:103], a[170:171], v[202:203], v[100:103]// 0000000040C8: D3F30064 0D9395AA
	buffer_load_dwordx4 a[76:79], v38, s[24:27], 0 offen offset:3072// 0000000040D0: E05C1C00 80864C26
	v_mfma_f32_16x16x32_fp8_fp8 v[100:103], a[172:173], v[204:205], v[100:103]// 0000000040D8: D3F30064 0D9399AC
	v_mfma_f32_16x16x32_fp8_fp8 v[100:103], a[174:175], v[206:207], v[100:103]// 0000000040E0: D3F30064 0D939DAE
	s_waitcnt vmcnt(20)                                        // 0000000040E8: BF8C4F74
	v_mfma_f32_16x16x32_fp8_fp8 v[104:107], a[176:177], v[176:177], v[104:107]// 0000000040EC: D3F30068 0DA361B0
	v_mfma_f32_16x16x32_fp8_fp8 v[104:107], a[178:179], v[178:179], v[104:107]// 0000000040F4: D3F30068 0DA365B2
	buffer_load_dwordx4 a[80:83], v39, s[24:27], 0 offen       // 0000000040FC: E05C1000 80865027
	v_mfma_f32_16x16x32_fp8_fp8 v[104:107], a[180:181], v[180:181], v[104:107]// 000000004104: D3F30068 0DA369B4
	v_mfma_f32_16x16x32_fp8_fp8 v[104:107], a[182:183], v[182:183], v[104:107]// 00000000410C: D3F30068 0DA36DB6
	v_mfma_f32_16x16x32_fp8_fp8 v[104:107], a[184:185], v[184:185], v[104:107]// 000000004114: D3F30068 0DA371B8
	v_mfma_f32_16x16x32_fp8_fp8 v[104:107], a[186:187], v[186:187], v[104:107]// 00000000411C: D3F30068 0DA375BA
	buffer_load_dwordx4 a[84:87], v39, s[24:27], 0 offen offset:1024// 000000004124: E05C1400 80865427
	v_mfma_f32_16x16x32_fp8_fp8 v[104:107], a[188:189], v[188:189], v[104:107]// 00000000412C: D3F30068 0DA379BC
	v_mfma_f32_16x16x32_fp8_fp8 v[104:107], a[190:191], v[190:191], v[104:107]// 000000004134: D3F30068 0DA37DBE
	v_mfma_f32_16x16x32_fp8_fp8 v[108:111], a[176:177], v[192:193], v[108:111]// 00000000413C: D3F3006C 0DB381B0
	v_mfma_f32_16x16x32_fp8_fp8 v[108:111], a[178:179], v[194:195], v[108:111]// 000000004144: D3F3006C 0DB385B2
	buffer_load_dwordx4 a[88:91], v39, s[24:27], 0 offen offset:2048// 00000000414C: E05C1800 80865827
	v_mfma_f32_16x16x32_fp8_fp8 v[108:111], a[180:181], v[196:197], v[108:111]// 000000004154: D3F3006C 0DB389B4
	v_mfma_f32_16x16x32_fp8_fp8 v[108:111], a[182:183], v[198:199], v[108:111]// 00000000415C: D3F3006C 0DB38DB6
	v_mfma_f32_16x16x32_fp8_fp8 v[108:111], a[184:185], v[200:201], v[108:111]// 000000004164: D3F3006C 0DB391B8
	v_mfma_f32_16x16x32_fp8_fp8 v[108:111], a[186:187], v[202:203], v[108:111]// 00000000416C: D3F3006C 0DB395BA
	buffer_load_dwordx4 a[92:95], v39, s[24:27], 0 offen offset:3072// 000000004174: E05C1C00 80865C27
	v_mfma_f32_16x16x32_fp8_fp8 v[108:111], a[188:189], v[204:205], v[108:111]// 00000000417C: D3F3006C 0DB399BC
	v_mfma_f32_16x16x32_fp8_fp8 v[108:111], a[190:191], v[206:207], v[108:111]// 000000004184: D3F3006C 0DB39DBE
	s_add_u32 s60, 0x200, s80                                  // 00000000418C: 803C50FF 00000200
	s_cmp_lt_u32 s60, s81                                      // 000000004194: BF0A513C
	s_cselect_b32 s57, s57, 0                                  // 000000004198: 85398039
	s_add_u32 s60, 0x200, s80                                  // 00000000419C: 803C50FF 00000200
	s_cmp_lt_u32 s60, s81                                      // 0000000041A4: BF0A513C
	s_cselect_b32 s58, s58, 0                                  // 0000000041A8: 853A803A
	s_add_u32 s20, s57, s20                                    // 0000000041AC: 80141439
	s_addc_u32 s21, 0, s21                                     // 0000000041B0: 82151580
	s_add_u32 s24, s58, s24                                    // 0000000041B4: 8018183A
	s_addc_u32 s25, 0, s25                                     // 0000000041B8: 82191980
	s_add_u32 s92, s90, s92                                    // 0000000041BC: 805C5C5A
	s_addc_u32 s93, 0, s93                                     // 0000000041C0: 825D5D80
	s_addk_i32 s80, 0x100                                      // 0000000041C4: B7500100
	s_cmp_lt_i32 s80, s81                                      // 0000000041C8: BF045150
	s_cbranch_scc0 label_0721                                  // 0000000041CC: BF84022D
	s_waitcnt vmcnt(16) lgkmcnt(0)                             // 0000000041D0: BF8C4070
	s_barrier                                                  // 0000000041D4: BF8A0000
	v_mfma_f32_16x16x32_fp8_fp8 v[128:131], a[0:1], v[208:209], v[128:131]// 0000000041D8: D3F30080 0E03A100
	v_mfma_f32_16x16x32_fp8_fp8 v[128:131], a[2:3], v[210:211], v[128:131]// 0000000041E0: D3F30080 0E03A502
	buffer_load_dwordx4 a[96:99], v34, s[92:95], 0 offen       // 0000000041E8: E05C1000 80976022
	v_mfma_f32_16x16x32_fp8_fp8 v[128:131], a[4:5], v[212:213], v[128:131]// 0000000041F0: D3F30080 0E03A904
	v_mfma_f32_16x16x32_fp8_fp8 v[128:131], a[6:7], v[214:215], v[128:131]// 0000000041F8: D3F30080 0E03AD06
	buffer_load_dword v26, s[20:23], 0 offen lds               // 000000004200: E0511000 8005001A
	s_add_u32 m0, 0x100, s50                                   // 000000004208: 807C32FF 00000100
	v_mfma_f32_16x16x32_fp8_fp8 v[128:131], a[8:9], v[216:217], v[128:131]// 000000004210: D3F30080 0E03B108
	v_mfma_f32_16x16x32_fp8_fp8 v[128:131], a[10:11], v[218:219], v[128:131]// 000000004218: D3F30080 0E03B50A
	buffer_load_dwordx4 a[100:103], v34, s[92:95], 0 offen offset:1024// 000000004220: E05C1400 80976422
	v_mfma_f32_16x16x32_fp8_fp8 v[128:131], a[12:13], v[220:221], v[128:131]// 000000004228: D3F30080 0E03B90C
	v_mfma_f32_16x16x32_fp8_fp8 v[128:131], a[14:15], v[222:223], v[128:131]// 000000004230: D3F30080 0E03BD0E
	buffer_load_dword v27, s[20:23], 0 offen lds               // 000000004238: E0511000 8005001B
	s_add_u32 m0, 0x200, s50                                   // 000000004240: 807C32FF 00000200
	v_mfma_f32_16x16x32_fp8_fp8 v[132:135], a[0:1], v[224:225], v[132:135]// 000000004248: D3F30084 0E13C100
	v_mfma_f32_16x16x32_fp8_fp8 v[132:135], a[2:3], v[226:227], v[132:135]// 000000004250: D3F30084 0E13C502
	buffer_load_dwordx4 a[104:107], v34, s[92:95], 0 offen offset:2048// 000000004258: E05C1800 80976822
	v_mfma_f32_16x16x32_fp8_fp8 v[132:135], a[4:5], v[228:229], v[132:135]// 000000004260: D3F30084 0E13C904
	v_mfma_f32_16x16x32_fp8_fp8 v[132:135], a[6:7], v[230:231], v[132:135]// 000000004268: D3F30084 0E13CD06
	buffer_load_dword v28, s[20:23], 0 offen lds               // 000000004270: E0511000 8005001C
	s_add_u32 m0, 0x300, s50                                   // 000000004278: 807C32FF 00000300
	v_mfma_f32_16x16x32_fp8_fp8 v[132:135], a[8:9], v[232:233], v[132:135]// 000000004280: D3F30084 0E13D108
	v_mfma_f32_16x16x32_fp8_fp8 v[132:135], a[10:11], v[234:235], v[132:135]// 000000004288: D3F30084 0E13D50A
	buffer_load_dwordx4 a[108:111], v34, s[92:95], 0 offen offset:3072// 000000004290: E05C1C00 80976C22
	v_mfma_f32_16x16x32_fp8_fp8 v[132:135], a[12:13], v[236:237], v[132:135]// 000000004298: D3F30084 0E13D90C
	v_mfma_f32_16x16x32_fp8_fp8 v[132:135], a[14:15], v[238:239], v[132:135]// 0000000042A0: D3F30084 0E13DD0E
	buffer_load_dword v29, s[20:23], 0 offen lds               // 0000000042A8: E0511000 8005001D
	s_add_u32 m0, 0x400, s50                                   // 0000000042B0: 807C32FF 00000400
	v_mfma_f32_16x16x32_fp8_fp8 v[136:139], a[16:17], v[208:209], v[136:139]// 0000000042B8: D3F30088 0E23A110
	v_mfma_f32_16x16x32_fp8_fp8 v[136:139], a[18:19], v[210:211], v[136:139]// 0000000042C0: D3F30088 0E23A512
	buffer_load_dwordx4 a[112:115], v35, s[92:95], 0 offen     // 0000000042C8: E05C1000 80977023
	v_mfma_f32_16x16x32_fp8_fp8 v[136:139], a[20:21], v[212:213], v[136:139]// 0000000042D0: D3F30088 0E23A914
	v_mfma_f32_16x16x32_fp8_fp8 v[136:139], a[22:23], v[214:215], v[136:139]// 0000000042D8: D3F30088 0E23AD16
	buffer_load_dword v30, s[20:23], 0 offen lds               // 0000000042E0: E0511000 8005001E
	s_add_u32 m0, 0x500, s50                                   // 0000000042E8: 807C32FF 00000500
	v_mfma_f32_16x16x32_fp8_fp8 v[136:139], a[24:25], v[216:217], v[136:139]// 0000000042F0: D3F30088 0E23B118
	v_mfma_f32_16x16x32_fp8_fp8 v[136:139], a[26:27], v[218:219], v[136:139]// 0000000042F8: D3F30088 0E23B51A
	buffer_load_dwordx4 a[116:119], v35, s[92:95], 0 offen offset:1024// 000000004300: E05C1400 80977423
	v_mfma_f32_16x16x32_fp8_fp8 v[136:139], a[28:29], v[220:221], v[136:139]// 000000004308: D3F30088 0E23B91C
	v_mfma_f32_16x16x32_fp8_fp8 v[136:139], a[30:31], v[222:223], v[136:139]// 000000004310: D3F30088 0E23BD1E
	buffer_load_dword v31, s[20:23], 0 offen lds               // 000000004318: E0511000 8005001F
	s_add_u32 m0, 0x600, s50                                   // 000000004320: 807C32FF 00000600
	v_mfma_f32_16x16x32_fp8_fp8 v[140:143], a[16:17], v[224:225], v[140:143]// 000000004328: D3F3008C 0E33C110
	v_mfma_f32_16x16x32_fp8_fp8 v[140:143], a[18:19], v[226:227], v[140:143]// 000000004330: D3F3008C 0E33C512
	buffer_load_dwordx4 a[120:123], v35, s[92:95], 0 offen offset:2048// 000000004338: E05C1800 80977823
	v_mfma_f32_16x16x32_fp8_fp8 v[140:143], a[20:21], v[228:229], v[140:143]// 000000004340: D3F3008C 0E33C914
	v_mfma_f32_16x16x32_fp8_fp8 v[140:143], a[22:23], v[230:231], v[140:143]// 000000004348: D3F3008C 0E33CD16
	buffer_load_dword v32, s[20:23], 0 offen lds               // 000000004350: E0511000 80050020
	s_add_u32 m0, 0x700, s50                                   // 000000004358: 807C32FF 00000700
	v_mfma_f32_16x16x32_fp8_fp8 v[140:143], a[24:25], v[232:233], v[140:143]// 000000004360: D3F3008C 0E33D118
	v_mfma_f32_16x16x32_fp8_fp8 v[140:143], a[26:27], v[234:235], v[140:143]// 000000004368: D3F3008C 0E33D51A
	buffer_load_dwordx4 a[124:127], v35, s[92:95], 0 offen offset:3072// 000000004370: E05C1C00 80977C23
	v_mfma_f32_16x16x32_fp8_fp8 v[140:143], a[28:29], v[236:237], v[140:143]// 000000004378: D3F3008C 0E33D91C
	v_mfma_f32_16x16x32_fp8_fp8 v[140:143], a[30:31], v[238:239], v[140:143]// 000000004380: D3F3008C 0E33DD1E
	buffer_load_dword v33, s[20:23], 0 offen lds               // 000000004388: E0511000 80050021
	s_add_u32 m0, 0, s51                                       // 000000004390: 807C3380
	s_waitcnt vmcnt(28)                                        // 000000004394: BF8C4F7C
	v_mfma_f32_16x16x32_fp8_fp8 v[144:147], a[32:33], v[208:209], v[144:147]// 000000004398: D3F30090 0E43A120
	v_mfma_f32_16x16x32_fp8_fp8 v[144:147], a[34:35], v[210:211], v[144:147]// 0000000043A0: D3F30090 0E43A522
	buffer_load_dwordx4 a[128:131], v36, s[92:95], 0 offen     // 0000000043A8: E05C1000 80978024
	v_mfma_f32_16x16x32_fp8_fp8 v[144:147], a[36:37], v[212:213], v[144:147]// 0000000043B0: D3F30090 0E43A924
	v_mfma_f32_16x16x32_fp8_fp8 v[144:147], a[38:39], v[214:215], v[144:147]// 0000000043B8: D3F30090 0E43AD26
	v_mfma_f32_16x16x32_fp8_fp8 v[144:147], a[40:41], v[216:217], v[144:147]// 0000000043C0: D3F30090 0E43B128
	v_mfma_f32_16x16x32_fp8_fp8 v[144:147], a[42:43], v[218:219], v[144:147]// 0000000043C8: D3F30090 0E43B52A
	buffer_load_dwordx4 a[132:135], v36, s[92:95], 0 offen offset:1024// 0000000043D0: E05C1400 80978424
	v_mfma_f32_16x16x32_fp8_fp8 v[144:147], a[44:45], v[220:221], v[144:147]// 0000000043D8: D3F30090 0E43B92C
	v_mfma_f32_16x16x32_fp8_fp8 v[144:147], a[46:47], v[222:223], v[144:147]// 0000000043E0: D3F30090 0E43BD2E
	v_mfma_f32_16x16x32_fp8_fp8 v[148:151], a[32:33], v[224:225], v[148:151]// 0000000043E8: D3F30094 0E53C120
	v_mfma_f32_16x16x32_fp8_fp8 v[148:151], a[34:35], v[226:227], v[148:151]// 0000000043F0: D3F30094 0E53C522
	buffer_load_dwordx4 a[136:139], v36, s[92:95], 0 offen offset:2048// 0000000043F8: E05C1800 80978824
	v_mfma_f32_16x16x32_fp8_fp8 v[148:151], a[36:37], v[228:229], v[148:151]// 000000004400: D3F30094 0E53C924
	v_mfma_f32_16x16x32_fp8_fp8 v[148:151], a[38:39], v[230:231], v[148:151]// 000000004408: D3F30094 0E53CD26
	v_mfma_f32_16x16x32_fp8_fp8 v[148:151], a[40:41], v[232:233], v[148:151]// 000000004410: D3F30094 0E53D128
	v_mfma_f32_16x16x32_fp8_fp8 v[148:151], a[42:43], v[234:235], v[148:151]// 000000004418: D3F30094 0E53D52A
	buffer_load_dwordx4 a[140:143], v36, s[92:95], 0 offen offset:3072// 000000004420: E05C1C00 80978C24
	v_mfma_f32_16x16x32_fp8_fp8 v[148:151], a[44:45], v[236:237], v[148:151]// 000000004428: D3F30094 0E53D92C
	v_mfma_f32_16x16x32_fp8_fp8 v[148:151], a[46:47], v[238:239], v[148:151]// 000000004430: D3F30094 0E53DD2E
	s_waitcnt vmcnt(28)                                        // 000000004438: BF8C4F7C
	v_mfma_f32_16x16x32_fp8_fp8 v[152:155], a[48:49], v[208:209], v[152:155]// 00000000443C: D3F30098 0E63A130
	v_mfma_f32_16x16x32_fp8_fp8 v[152:155], a[50:51], v[210:211], v[152:155]// 000000004444: D3F30098 0E63A532
	buffer_load_dwordx4 a[144:147], v37, s[92:95], 0 offen     // 00000000444C: E05C1000 80979025
	v_mfma_f32_16x16x32_fp8_fp8 v[152:155], a[52:53], v[212:213], v[152:155]// 000000004454: D3F30098 0E63A934
	v_mfma_f32_16x16x32_fp8_fp8 v[152:155], a[54:55], v[214:215], v[152:155]// 00000000445C: D3F30098 0E63AD36
	v_mfma_f32_16x16x32_fp8_fp8 v[152:155], a[56:57], v[216:217], v[152:155]// 000000004464: D3F30098 0E63B138
	v_mfma_f32_16x16x32_fp8_fp8 v[152:155], a[58:59], v[218:219], v[152:155]// 00000000446C: D3F30098 0E63B53A
	buffer_load_dwordx4 a[148:151], v37, s[92:95], 0 offen offset:1024// 000000004474: E05C1400 80979425
	v_mfma_f32_16x16x32_fp8_fp8 v[152:155], a[60:61], v[220:221], v[152:155]// 00000000447C: D3F30098 0E63B93C
	v_mfma_f32_16x16x32_fp8_fp8 v[152:155], a[62:63], v[222:223], v[152:155]// 000000004484: D3F30098 0E63BD3E
	v_mfma_f32_16x16x32_fp8_fp8 v[156:159], a[48:49], v[224:225], v[156:159]// 00000000448C: D3F3009C 0E73C130
	v_mfma_f32_16x16x32_fp8_fp8 v[156:159], a[50:51], v[226:227], v[156:159]// 000000004494: D3F3009C 0E73C532
	buffer_load_dwordx4 a[152:155], v37, s[92:95], 0 offen offset:2048// 00000000449C: E05C1800 80979825
	v_mfma_f32_16x16x32_fp8_fp8 v[156:159], a[52:53], v[228:229], v[156:159]// 0000000044A4: D3F3009C 0E73C934
	v_mfma_f32_16x16x32_fp8_fp8 v[156:159], a[54:55], v[230:231], v[156:159]// 0000000044AC: D3F3009C 0E73CD36
	v_mfma_f32_16x16x32_fp8_fp8 v[156:159], a[56:57], v[232:233], v[156:159]// 0000000044B4: D3F3009C 0E73D138
	v_mfma_f32_16x16x32_fp8_fp8 v[156:159], a[58:59], v[234:235], v[156:159]// 0000000044BC: D3F3009C 0E73D53A
	buffer_load_dwordx4 a[156:159], v37, s[92:95], 0 offen offset:3072// 0000000044C4: E05C1C00 80979C25
	v_mfma_f32_16x16x32_fp8_fp8 v[156:159], a[60:61], v[236:237], v[156:159]// 0000000044CC: D3F3009C 0E73D93C
	v_mfma_f32_16x16x32_fp8_fp8 v[156:159], a[62:63], v[238:239], v[156:159]// 0000000044D4: D3F3009C 0E73DD3E
	s_waitcnt vmcnt(28)                                        // 0000000044DC: BF8C4F7C
	v_mfma_f32_16x16x32_fp8_fp8 v[160:163], a[64:65], v[208:209], v[160:163]// 0000000044E0: D3F300A0 0E83A140
	v_mfma_f32_16x16x32_fp8_fp8 v[160:163], a[66:67], v[210:211], v[160:163]// 0000000044E8: D3F300A0 0E83A542
	buffer_load_dwordx4 a[160:163], v38, s[92:95], 0 offen     // 0000000044F0: E05C1000 8097A026
	v_mfma_f32_16x16x32_fp8_fp8 v[160:163], a[68:69], v[212:213], v[160:163]// 0000000044F8: D3F300A0 0E83A944
	v_mfma_f32_16x16x32_fp8_fp8 v[160:163], a[70:71], v[214:215], v[160:163]// 000000004500: D3F300A0 0E83AD46
	v_mfma_f32_16x16x32_fp8_fp8 v[160:163], a[72:73], v[216:217], v[160:163]// 000000004508: D3F300A0 0E83B148
	v_mfma_f32_16x16x32_fp8_fp8 v[160:163], a[74:75], v[218:219], v[160:163]// 000000004510: D3F300A0 0E83B54A
	buffer_load_dwordx4 a[164:167], v38, s[92:95], 0 offen offset:1024// 000000004518: E05C1400 8097A426
	v_mfma_f32_16x16x32_fp8_fp8 v[160:163], a[76:77], v[220:221], v[160:163]// 000000004520: D3F300A0 0E83B94C
	v_mfma_f32_16x16x32_fp8_fp8 v[160:163], a[78:79], v[222:223], v[160:163]// 000000004528: D3F300A0 0E83BD4E
	v_mfma_f32_16x16x32_fp8_fp8 v[164:167], a[64:65], v[224:225], v[164:167]// 000000004530: D3F300A4 0E93C140
	v_mfma_f32_16x16x32_fp8_fp8 v[164:167], a[66:67], v[226:227], v[164:167]// 000000004538: D3F300A4 0E93C542
	buffer_load_dwordx4 a[168:171], v38, s[92:95], 0 offen offset:2048// 000000004540: E05C1800 8097A826
	v_mfma_f32_16x16x32_fp8_fp8 v[164:167], a[68:69], v[228:229], v[164:167]// 000000004548: D3F300A4 0E93C944
	v_mfma_f32_16x16x32_fp8_fp8 v[164:167], a[70:71], v[230:231], v[164:167]// 000000004550: D3F300A4 0E93CD46
	v_mfma_f32_16x16x32_fp8_fp8 v[164:167], a[72:73], v[232:233], v[164:167]// 000000004558: D3F300A4 0E93D148
	v_mfma_f32_16x16x32_fp8_fp8 v[164:167], a[74:75], v[234:235], v[164:167]// 000000004560: D3F300A4 0E93D54A
	buffer_load_dwordx4 a[172:175], v38, s[92:95], 0 offen offset:3072// 000000004568: E05C1C00 8097AC26
	v_mfma_f32_16x16x32_fp8_fp8 v[164:167], a[76:77], v[236:237], v[164:167]// 000000004570: D3F300A4 0E93D94C
	v_mfma_f32_16x16x32_fp8_fp8 v[164:167], a[78:79], v[238:239], v[164:167]// 000000004578: D3F300A4 0E93DD4E
	s_waitcnt vmcnt(28)                                        // 000000004580: BF8C4F7C
	v_mfma_f32_16x16x32_fp8_fp8 v[168:171], a[80:81], v[208:209], v[168:171]// 000000004584: D3F300A8 0EA3A150
	v_mfma_f32_16x16x32_fp8_fp8 v[168:171], a[82:83], v[210:211], v[168:171]// 00000000458C: D3F300A8 0EA3A552
	buffer_load_dwordx4 a[176:179], v39, s[92:95], 0 offen     // 000000004594: E05C1000 8097B027
	v_mfma_f32_16x16x32_fp8_fp8 v[168:171], a[84:85], v[212:213], v[168:171]// 00000000459C: D3F300A8 0EA3A954
	v_mfma_f32_16x16x32_fp8_fp8 v[168:171], a[86:87], v[214:215], v[168:171]// 0000000045A4: D3F300A8 0EA3AD56
	v_mfma_f32_16x16x32_fp8_fp8 v[168:171], a[88:89], v[216:217], v[168:171]// 0000000045AC: D3F300A8 0EA3B158
	v_mfma_f32_16x16x32_fp8_fp8 v[168:171], a[90:91], v[218:219], v[168:171]// 0000000045B4: D3F300A8 0EA3B55A
	buffer_load_dwordx4 a[180:183], v39, s[92:95], 0 offen offset:1024// 0000000045BC: E05C1400 8097B427
	v_mfma_f32_16x16x32_fp8_fp8 v[168:171], a[92:93], v[220:221], v[168:171]// 0000000045C4: D3F300A8 0EA3B95C
	v_mfma_f32_16x16x32_fp8_fp8 v[168:171], a[94:95], v[222:223], v[168:171]// 0000000045CC: D3F300A8 0EA3BD5E
	v_mfma_f32_16x16x32_fp8_fp8 v[172:175], a[80:81], v[224:225], v[172:175]// 0000000045D4: D3F300AC 0EB3C150
	v_mfma_f32_16x16x32_fp8_fp8 v[172:175], a[82:83], v[226:227], v[172:175]// 0000000045DC: D3F300AC 0EB3C552
	buffer_load_dwordx4 a[184:187], v39, s[92:95], 0 offen offset:2048// 0000000045E4: E05C1800 8097B827
	v_mfma_f32_16x16x32_fp8_fp8 v[172:175], a[84:85], v[228:229], v[172:175]// 0000000045EC: D3F300AC 0EB3C954
	v_mfma_f32_16x16x32_fp8_fp8 v[172:175], a[86:87], v[230:231], v[172:175]// 0000000045F4: D3F300AC 0EB3CD56
	v_mfma_f32_16x16x32_fp8_fp8 v[172:175], a[88:89], v[232:233], v[172:175]// 0000000045FC: D3F300AC 0EB3D158
	v_mfma_f32_16x16x32_fp8_fp8 v[172:175], a[90:91], v[234:235], v[172:175]// 000000004604: D3F300AC 0EB3D55A
	buffer_load_dwordx4 a[188:191], v39, s[92:95], 0 offen offset:3072// 00000000460C: E05C1C00 8097BC27
	v_mfma_f32_16x16x32_fp8_fp8 v[172:175], a[92:93], v[236:237], v[172:175]// 000000004614: D3F300AC 0EB3D95C
	v_mfma_f32_16x16x32_fp8_fp8 v[172:175], a[94:95], v[238:239], v[172:175]// 00000000461C: D3F300AC 0EB3DD5E
	s_waitcnt vmcnt(16)                                        // 000000004624: BF8C4F70
	s_barrier                                                  // 000000004628: BF8A0000
	v_mfma_f32_16x16x32_fp8_fp8 v[64:67], a[96:97], v[208:209], v[64:67]// 00000000462C: D3F30040 0D03A160
	v_mfma_f32_16x16x32_fp8_fp8 v[64:67], a[98:99], v[210:211], v[64:67]// 000000004634: D3F30040 0D03A562
	buffer_load_dwordx4 a[0:3], v34, s[24:27], 0 offen         // 00000000463C: E05C1000 80860022
	v_mfma_f32_16x16x32_fp8_fp8 v[64:67], a[100:101], v[212:213], v[64:67]// 000000004644: D3F30040 0D03A964
	v_mfma_f32_16x16x32_fp8_fp8 v[64:67], a[102:103], v[214:215], v[64:67]// 00000000464C: D3F30040 0D03AD66
	v_mfma_f32_16x16x32_fp8_fp8 v[64:67], a[104:105], v[216:217], v[64:67]// 000000004654: D3F30040 0D03B168
	v_mfma_f32_16x16x32_fp8_fp8 v[64:67], a[106:107], v[218:219], v[64:67]// 00000000465C: D3F30040 0D03B56A
	buffer_load_dwordx4 a[4:7], v34, s[24:27], 0 offen offset:1024// 000000004664: E05C1400 80860422
	v_mfma_f32_16x16x32_fp8_fp8 v[64:67], a[108:109], v[220:221], v[64:67]// 00000000466C: D3F30040 0D03B96C
	v_mfma_f32_16x16x32_fp8_fp8 v[64:67], a[110:111], v[222:223], v[64:67]// 000000004674: D3F30040 0D03BD6E
	v_mfma_f32_16x16x32_fp8_fp8 v[68:71], a[96:97], v[224:225], v[68:71]// 00000000467C: D3F30044 0D13C160
	v_mfma_f32_16x16x32_fp8_fp8 v[68:71], a[98:99], v[226:227], v[68:71]// 000000004684: D3F30044 0D13C562
	buffer_load_dwordx4 a[8:11], v34, s[24:27], 0 offen offset:2048// 00000000468C: E05C1800 80860822
	v_mfma_f32_16x16x32_fp8_fp8 v[68:71], a[100:101], v[228:229], v[68:71]// 000000004694: D3F30044 0D13C964
	v_mfma_f32_16x16x32_fp8_fp8 v[68:71], a[102:103], v[230:231], v[68:71]// 00000000469C: D3F30044 0D13CD66
	v_mfma_f32_16x16x32_fp8_fp8 v[68:71], a[104:105], v[232:233], v[68:71]// 0000000046A4: D3F30044 0D13D168
	v_mfma_f32_16x16x32_fp8_fp8 v[68:71], a[106:107], v[234:235], v[68:71]// 0000000046AC: D3F30044 0D13D56A
	buffer_load_dwordx4 a[12:15], v34, s[24:27], 0 offen offset:3072// 0000000046B4: E05C1C00 80860C22
	v_mfma_f32_16x16x32_fp8_fp8 v[68:71], a[108:109], v[236:237], v[68:71]// 0000000046BC: D3F30044 0D13D96C
	v_mfma_f32_16x16x32_fp8_fp8 v[68:71], a[110:111], v[238:239], v[68:71]// 0000000046C4: D3F30044 0D13DD6E
	v_mfma_f32_16x16x32_fp8_fp8 v[72:75], a[112:113], v[208:209], v[72:75]// 0000000046CC: D3F30048 0D23A170
	v_mfma_f32_16x16x32_fp8_fp8 v[72:75], a[114:115], v[210:211], v[72:75]// 0000000046D4: D3F30048 0D23A572
	buffer_load_dwordx4 a[16:19], v35, s[24:27], 0 offen       // 0000000046DC: E05C1000 80861023
	v_mfma_f32_16x16x32_fp8_fp8 v[72:75], a[116:117], v[212:213], v[72:75]// 0000000046E4: D3F30048 0D23A974
	v_mfma_f32_16x16x32_fp8_fp8 v[72:75], a[118:119], v[214:215], v[72:75]// 0000000046EC: D3F30048 0D23AD76
	v_mfma_f32_16x16x32_fp8_fp8 v[72:75], a[120:121], v[216:217], v[72:75]// 0000000046F4: D3F30048 0D23B178
	v_mfma_f32_16x16x32_fp8_fp8 v[72:75], a[122:123], v[218:219], v[72:75]// 0000000046FC: D3F30048 0D23B57A
	buffer_load_dwordx4 a[20:23], v35, s[24:27], 0 offen offset:1024// 000000004704: E05C1400 80861423
	v_mfma_f32_16x16x32_fp8_fp8 v[72:75], a[124:125], v[220:221], v[72:75]// 00000000470C: D3F30048 0D23B97C
	v_mfma_f32_16x16x32_fp8_fp8 v[72:75], a[126:127], v[222:223], v[72:75]// 000000004714: D3F30048 0D23BD7E
	v_mfma_f32_16x16x32_fp8_fp8 v[76:79], a[112:113], v[224:225], v[76:79]// 00000000471C: D3F3004C 0D33C170
	v_mfma_f32_16x16x32_fp8_fp8 v[76:79], a[114:115], v[226:227], v[76:79]// 000000004724: D3F3004C 0D33C572
	buffer_load_dwordx4 a[24:27], v35, s[24:27], 0 offen offset:2048// 00000000472C: E05C1800 80861823
	v_mfma_f32_16x16x32_fp8_fp8 v[76:79], a[116:117], v[228:229], v[76:79]// 000000004734: D3F3004C 0D33C974
	v_mfma_f32_16x16x32_fp8_fp8 v[76:79], a[118:119], v[230:231], v[76:79]// 00000000473C: D3F3004C 0D33CD76
	v_mfma_f32_16x16x32_fp8_fp8 v[76:79], a[120:121], v[232:233], v[76:79]// 000000004744: D3F3004C 0D33D178
	v_mfma_f32_16x16x32_fp8_fp8 v[76:79], a[122:123], v[234:235], v[76:79]// 00000000474C: D3F3004C 0D33D57A
	buffer_load_dwordx4 a[28:31], v35, s[24:27], 0 offen offset:3072// 000000004754: E05C1C00 80861C23
	v_mfma_f32_16x16x32_fp8_fp8 v[76:79], a[124:125], v[236:237], v[76:79]// 00000000475C: D3F3004C 0D33D97C
	v_mfma_f32_16x16x32_fp8_fp8 v[76:79], a[126:127], v[238:239], v[76:79]// 000000004764: D3F3004C 0D33DD7E
	s_waitcnt vmcnt(20)                                        // 00000000476C: BF8C4F74
	v_mfma_f32_16x16x32_fp8_fp8 v[80:83], a[128:129], v[208:209], v[80:83]// 000000004770: D3F30050 0D43A180
	v_mfma_f32_16x16x32_fp8_fp8 v[80:83], a[130:131], v[210:211], v[80:83]// 000000004778: D3F30050 0D43A582
	buffer_load_dwordx4 a[32:35], v36, s[24:27], 0 offen       // 000000004780: E05C1000 80862024
	v_mfma_f32_16x16x32_fp8_fp8 v[80:83], a[132:133], v[212:213], v[80:83]// 000000004788: D3F30050 0D43A984
	v_mfma_f32_16x16x32_fp8_fp8 v[80:83], a[134:135], v[214:215], v[80:83]// 000000004790: D3F30050 0D43AD86
	ds_read_b128 v[176:179], v2                                // 000000004798: D9FE0000 B0000002
	v_mfma_f32_16x16x32_fp8_fp8 v[80:83], a[136:137], v[216:217], v[80:83]// 0000000047A0: D3F30050 0D43B188
	v_mfma_f32_16x16x32_fp8_fp8 v[80:83], a[138:139], v[218:219], v[80:83]// 0000000047A8: D3F30050 0D43B58A
	buffer_load_dwordx4 a[36:39], v36, s[24:27], 0 offen offset:1024// 0000000047B0: E05C1400 80862424
	v_mfma_f32_16x16x32_fp8_fp8 v[80:83], a[140:141], v[220:221], v[80:83]// 0000000047B8: D3F30050 0D43B98C
	v_mfma_f32_16x16x32_fp8_fp8 v[80:83], a[142:143], v[222:223], v[80:83]// 0000000047C0: D3F30050 0D43BD8E
	ds_read_b128 v[180:183], v2 offset:64                      // 0000000047C8: D9FE0040 B4000002
	v_mfma_f32_16x16x32_fp8_fp8 v[84:87], a[128:129], v[224:225], v[84:87]// 0000000047D0: D3F30054 0D53C180
	v_mfma_f32_16x16x32_fp8_fp8 v[84:87], a[130:131], v[226:227], v[84:87]// 0000000047D8: D3F30054 0D53C582
	buffer_load_dwordx4 a[40:43], v36, s[24:27], 0 offen offset:2048// 0000000047E0: E05C1800 80862824
	v_mfma_f32_16x16x32_fp8_fp8 v[84:87], a[132:133], v[228:229], v[84:87]// 0000000047E8: D3F30054 0D53C984
	v_mfma_f32_16x16x32_fp8_fp8 v[84:87], a[134:135], v[230:231], v[84:87]// 0000000047F0: D3F30054 0D53CD86
	ds_read_b128 v[184:187], v2 offset:128                     // 0000000047F8: D9FE0080 B8000002
	v_mfma_f32_16x16x32_fp8_fp8 v[84:87], a[136:137], v[232:233], v[84:87]// 000000004800: D3F30054 0D53D188
	v_mfma_f32_16x16x32_fp8_fp8 v[84:87], a[138:139], v[234:235], v[84:87]// 000000004808: D3F30054 0D53D58A
	buffer_load_dwordx4 a[44:47], v36, s[24:27], 0 offen offset:3072// 000000004810: E05C1C00 80862C24
	v_mfma_f32_16x16x32_fp8_fp8 v[84:87], a[140:141], v[236:237], v[84:87]// 000000004818: D3F30054 0D53D98C
	v_mfma_f32_16x16x32_fp8_fp8 v[84:87], a[142:143], v[238:239], v[84:87]// 000000004820: D3F30054 0D53DD8E
	ds_read_b128 v[188:191], v2 offset:192                     // 000000004828: D9FE00C0 BC000002
	s_waitcnt vmcnt(20)                                        // 000000004830: BF8C4F74
	v_mfma_f32_16x16x32_fp8_fp8 v[88:91], a[144:145], v[208:209], v[88:91]// 000000004834: D3F30058 0D63A190
	v_mfma_f32_16x16x32_fp8_fp8 v[88:91], a[146:147], v[210:211], v[88:91]// 00000000483C: D3F30058 0D63A592
	buffer_load_dwordx4 a[48:51], v37, s[24:27], 0 offen       // 000000004844: E05C1000 80863025
	v_mfma_f32_16x16x32_fp8_fp8 v[88:91], a[148:149], v[212:213], v[88:91]// 00000000484C: D3F30058 0D63A994
	v_mfma_f32_16x16x32_fp8_fp8 v[88:91], a[150:151], v[214:215], v[88:91]// 000000004854: D3F30058 0D63AD96
	ds_read_b128 v[192:195], v2 offset:1024                    // 00000000485C: D9FE0400 C0000002
	v_mfma_f32_16x16x32_fp8_fp8 v[88:91], a[152:153], v[216:217], v[88:91]// 000000004864: D3F30058 0D63B198
	v_mfma_f32_16x16x32_fp8_fp8 v[88:91], a[154:155], v[218:219], v[88:91]// 00000000486C: D3F30058 0D63B59A
	buffer_load_dwordx4 a[52:55], v37, s[24:27], 0 offen offset:1024// 000000004874: E05C1400 80863425
	v_mfma_f32_16x16x32_fp8_fp8 v[88:91], a[156:157], v[220:221], v[88:91]// 00000000487C: D3F30058 0D63B99C
	v_mfma_f32_16x16x32_fp8_fp8 v[88:91], a[158:159], v[222:223], v[88:91]// 000000004884: D3F30058 0D63BD9E
	ds_read_b128 v[196:199], v2 offset:1088                    // 00000000488C: D9FE0440 C4000002
	v_mfma_f32_16x16x32_fp8_fp8 v[92:95], a[144:145], v[224:225], v[92:95]// 000000004894: D3F3005C 0D73C190
	v_mfma_f32_16x16x32_fp8_fp8 v[92:95], a[146:147], v[226:227], v[92:95]// 00000000489C: D3F3005C 0D73C592
	buffer_load_dwordx4 a[56:59], v37, s[24:27], 0 offen offset:2048// 0000000048A4: E05C1800 80863825
	v_mfma_f32_16x16x32_fp8_fp8 v[92:95], a[148:149], v[228:229], v[92:95]// 0000000048AC: D3F3005C 0D73C994
	v_mfma_f32_16x16x32_fp8_fp8 v[92:95], a[150:151], v[230:231], v[92:95]// 0000000048B4: D3F3005C 0D73CD96
	ds_read_b128 v[200:203], v2 offset:1152                    // 0000000048BC: D9FE0480 C8000002
	v_mfma_f32_16x16x32_fp8_fp8 v[92:95], a[152:153], v[232:233], v[92:95]// 0000000048C4: D3F3005C 0D73D198
	v_mfma_f32_16x16x32_fp8_fp8 v[92:95], a[154:155], v[234:235], v[92:95]// 0000000048CC: D3F3005C 0D73D59A
	buffer_load_dwordx4 a[60:63], v37, s[24:27], 0 offen offset:3072// 0000000048D4: E05C1C00 80863C25
	v_mfma_f32_16x16x32_fp8_fp8 v[92:95], a[156:157], v[236:237], v[92:95]// 0000000048DC: D3F3005C 0D73D99C
	v_mfma_f32_16x16x32_fp8_fp8 v[92:95], a[158:159], v[238:239], v[92:95]// 0000000048E4: D3F3005C 0D73DD9E
	ds_read_b128 v[204:207], v2 offset:1216                    // 0000000048EC: D9FE04C0 CC000002
	s_waitcnt vmcnt(20)                                        // 0000000048F4: BF8C4F74
	v_mfma_f32_16x16x32_fp8_fp8 v[96:99], a[160:161], v[208:209], v[96:99]// 0000000048F8: D3F30060 0D83A1A0
	v_mfma_f32_16x16x32_fp8_fp8 v[96:99], a[162:163], v[210:211], v[96:99]// 000000004900: D3F30060 0D83A5A2
	buffer_load_dwordx4 a[64:67], v38, s[24:27], 0 offen       // 000000004908: E05C1000 80864026
	v_mfma_f32_16x16x32_fp8_fp8 v[96:99], a[164:165], v[212:213], v[96:99]// 000000004910: D3F30060 0D83A9A4
	v_mfma_f32_16x16x32_fp8_fp8 v[96:99], a[166:167], v[214:215], v[96:99]// 000000004918: D3F30060 0D83ADA6
	v_mfma_f32_16x16x32_fp8_fp8 v[96:99], a[168:169], v[216:217], v[96:99]// 000000004920: D3F30060 0D83B1A8
	v_mfma_f32_16x16x32_fp8_fp8 v[96:99], a[170:171], v[218:219], v[96:99]// 000000004928: D3F30060 0D83B5AA
	buffer_load_dwordx4 a[68:71], v38, s[24:27], 0 offen offset:1024// 000000004930: E05C1400 80864426
	v_mfma_f32_16x16x32_fp8_fp8 v[96:99], a[172:173], v[220:221], v[96:99]// 000000004938: D3F30060 0D83B9AC
	v_mfma_f32_16x16x32_fp8_fp8 v[96:99], a[174:175], v[222:223], v[96:99]// 000000004940: D3F30060 0D83BDAE
	v_mfma_f32_16x16x32_fp8_fp8 v[100:103], a[160:161], v[224:225], v[100:103]// 000000004948: D3F30064 0D93C1A0
	v_mfma_f32_16x16x32_fp8_fp8 v[100:103], a[162:163], v[226:227], v[100:103]// 000000004950: D3F30064 0D93C5A2
	buffer_load_dwordx4 a[72:75], v38, s[24:27], 0 offen offset:2048// 000000004958: E05C1800 80864826
	v_mfma_f32_16x16x32_fp8_fp8 v[100:103], a[164:165], v[228:229], v[100:103]// 000000004960: D3F30064 0D93C9A4
	v_mfma_f32_16x16x32_fp8_fp8 v[100:103], a[166:167], v[230:231], v[100:103]// 000000004968: D3F30064 0D93CDA6
	v_mfma_f32_16x16x32_fp8_fp8 v[100:103], a[168:169], v[232:233], v[100:103]// 000000004970: D3F30064 0D93D1A8
	v_mfma_f32_16x16x32_fp8_fp8 v[100:103], a[170:171], v[234:235], v[100:103]// 000000004978: D3F30064 0D93D5AA
	buffer_load_dwordx4 a[76:79], v38, s[24:27], 0 offen offset:3072// 000000004980: E05C1C00 80864C26
	v_mfma_f32_16x16x32_fp8_fp8 v[100:103], a[172:173], v[236:237], v[100:103]// 000000004988: D3F30064 0D93D9AC
	v_mfma_f32_16x16x32_fp8_fp8 v[100:103], a[174:175], v[238:239], v[100:103]// 000000004990: D3F30064 0D93DDAE
	s_waitcnt vmcnt(20)                                        // 000000004998: BF8C4F74
	v_mfma_f32_16x16x32_fp8_fp8 v[104:107], a[176:177], v[208:209], v[104:107]// 00000000499C: D3F30068 0DA3A1B0
	v_mfma_f32_16x16x32_fp8_fp8 v[104:107], a[178:179], v[210:211], v[104:107]// 0000000049A4: D3F30068 0DA3A5B2
	buffer_load_dwordx4 a[80:83], v39, s[24:27], 0 offen       // 0000000049AC: E05C1000 80865027
	v_mfma_f32_16x16x32_fp8_fp8 v[104:107], a[180:181], v[212:213], v[104:107]// 0000000049B4: D3F30068 0DA3A9B4
	v_mfma_f32_16x16x32_fp8_fp8 v[104:107], a[182:183], v[214:215], v[104:107]// 0000000049BC: D3F30068 0DA3ADB6
	v_mfma_f32_16x16x32_fp8_fp8 v[104:107], a[184:185], v[216:217], v[104:107]// 0000000049C4: D3F30068 0DA3B1B8
	v_mfma_f32_16x16x32_fp8_fp8 v[104:107], a[186:187], v[218:219], v[104:107]// 0000000049CC: D3F30068 0DA3B5BA
	buffer_load_dwordx4 a[84:87], v39, s[24:27], 0 offen offset:1024// 0000000049D4: E05C1400 80865427
	v_mfma_f32_16x16x32_fp8_fp8 v[104:107], a[188:189], v[220:221], v[104:107]// 0000000049DC: D3F30068 0DA3B9BC
	v_mfma_f32_16x16x32_fp8_fp8 v[104:107], a[190:191], v[222:223], v[104:107]// 0000000049E4: D3F30068 0DA3BDBE
	v_mfma_f32_16x16x32_fp8_fp8 v[108:111], a[176:177], v[224:225], v[108:111]// 0000000049EC: D3F3006C 0DB3C1B0
	v_mfma_f32_16x16x32_fp8_fp8 v[108:111], a[178:179], v[226:227], v[108:111]// 0000000049F4: D3F3006C 0DB3C5B2
	buffer_load_dwordx4 a[88:91], v39, s[24:27], 0 offen offset:2048// 0000000049FC: E05C1800 80865827
	v_mfma_f32_16x16x32_fp8_fp8 v[108:111], a[180:181], v[228:229], v[108:111]// 000000004A04: D3F3006C 0DB3C9B4
	v_mfma_f32_16x16x32_fp8_fp8 v[108:111], a[182:183], v[230:231], v[108:111]// 000000004A0C: D3F3006C 0DB3CDB6
	v_mfma_f32_16x16x32_fp8_fp8 v[108:111], a[184:185], v[232:233], v[108:111]// 000000004A14: D3F3006C 0DB3D1B8
	v_mfma_f32_16x16x32_fp8_fp8 v[108:111], a[186:187], v[234:235], v[108:111]// 000000004A1C: D3F3006C 0DB3D5BA
	buffer_load_dwordx4 a[92:95], v39, s[24:27], 0 offen offset:3072// 000000004A24: E05C1C00 80865C27
	v_mfma_f32_16x16x32_fp8_fp8 v[108:111], a[188:189], v[236:237], v[108:111]// 000000004A2C: D3F3006C 0DB3D9BC
	v_mfma_f32_16x16x32_fp8_fp8 v[108:111], a[190:191], v[238:239], v[108:111]// 000000004A34: D3F3006C 0DB3DDBE
	s_add_u32 s60, 0x200, s80                                  // 000000004A3C: 803C50FF 00000200
	s_cmp_lt_u32 s60, s81                                      // 000000004A44: BF0A513C
	s_cselect_b32 s57, s57, 0                                  // 000000004A48: 85398039
	s_add_u32 s60, 0x200, s80                                  // 000000004A4C: 803C50FF 00000200
	s_cmp_lt_u32 s60, s81                                      // 000000004A54: BF0A513C
	s_cselect_b32 s58, s58, 0                                  // 000000004A58: 853A803A
	s_add_u32 s20, s57, s20                                    // 000000004A5C: 80141439
	s_addc_u32 s21, 0, s21                                     // 000000004A60: 82151580
	s_add_u32 s24, s58, s24                                    // 000000004A64: 8018183A
	s_addc_u32 s25, 0, s25                                     // 000000004A68: 82191980
	s_add_u32 s92, s90, s92                                    // 000000004A6C: 805C5C5A
	s_addc_u32 s93, 0, s93                                     // 000000004A70: 825D5D80
	s_addk_i32 s80, 0x100                                      // 000000004A74: B7500100
	s_cmp_lt_i32 s80, s81                                      // 000000004A78: BF045150
	s_cbranch_scc0 label_0721                                  // 000000004A7C: BF840001
	s_branch label_02C8                                        // 000000004A80: BF82FBA7

0000000000004a84 <label_0721>:
	s_mov_b32 s36, -1                                          // 000000004A84: BEA400C1
	s_mov_b32 s37, -1                                          // 000000004A88: BEA500C1
	s_mov_b64 s[60:61], 0                                      // 000000004A8C: BEBC0180
	s_cmp_lt_u32 s82, s66                                      // 000000004A90: BF0A4252
	s_cselect_b64 s[20:21], s[36:37], s[60:61]                 // 000000004A94: 85943C24
	s_cmp_lt_u32 s83, s66                                      // 000000004A98: BF0A4253
	s_cselect_b64 s[22:23], s[36:37], s[60:61]                 // 000000004A9C: 85963C24
	s_cmp_lt_u32 s84, s66                                      // 000000004AA0: BF0A4254
	s_cselect_b64 s[24:25], s[36:37], s[60:61]                 // 000000004AA4: 85983C24
	s_cmp_lt_u32 s85, s66                                      // 000000004AA8: BF0A4255
	s_cselect_b64 s[26:27], s[36:37], s[60:61]                 // 000000004AAC: 859A3C24
	s_cmp_lt_u32 s86, s66                                      // 000000004AB0: BF0A4256
	s_cselect_b64 s[28:29], s[36:37], s[60:61]                 // 000000004AB4: 859C3C24
	s_cmp_lt_u32 s87, s66                                      // 000000004AB8: BF0A4257
	s_cselect_b64 s[30:31], s[36:37], s[60:61]                 // 000000004ABC: 859E3C24
	s_cmp_lt_u32 s88, s66                                      // 000000004AC0: BF0A4258
	s_cselect_b64 s[32:33], s[36:37], s[60:61]                 // 000000004AC4: 85A03C24
	s_cmp_lt_u32 s89, s66                                      // 000000004AC8: BF0A4259
	s_cselect_b64 s[34:35], s[36:37], s[60:61]                 // 000000004ACC: 85A23C24
	v_mul_f32_e32 v128, v14, v128                              // 000000004AD0: 0B01010E
	v_mul_f32_e32 v128, v20, v128                              // 000000004AD4: 0B010114
	v_mul_f32_e32 v129, v14, v129                              // 000000004AD8: 0B03030E
	v_mul_f32_e32 v129, v20, v129                              // 000000004ADC: 0B030314
	v_mul_f32_e32 v130, v14, v130                              // 000000004AE0: 0B05050E
	v_mul_f32_e32 v130, v20, v130                              // 000000004AE4: 0B050514
	v_mul_f32_e32 v131, v14, v131                              // 000000004AE8: 0B07070E
	v_mul_f32_e32 v131, v20, v131                              // 000000004AEC: 0B070714
	v_mul_f32_dpp v128, v16, v128 row_newbcast:0 row_mask:0xf bank_mask:0xf// 000000004AF0: 0B0100FA FF015010
	v_mul_f32_dpp v129, v16, v129 row_newbcast:1 row_mask:0xf bank_mask:0xf// 000000004AF8: 0B0302FA FF015110
	v_mul_f32_dpp v130, v16, v130 row_newbcast:2 row_mask:0xf bank_mask:0xf// 000000004B00: 0B0504FA FF015210
	v_mul_f32_dpp v131, v16, v131 row_newbcast:3 row_mask:0xf bank_mask:0xf// 000000004B08: 0B0706FA FF015310
	v_mul_f32_e32 v132, v15, v132                              // 000000004B10: 0B09090F
	v_mul_f32_e32 v132, v21, v132                              // 000000004B14: 0B090915
	v_mul_f32_e32 v133, v15, v133                              // 000000004B18: 0B0B0B0F
	v_mul_f32_e32 v133, v21, v133                              // 000000004B1C: 0B0B0B15
	v_mul_f32_e32 v134, v15, v134                              // 000000004B20: 0B0D0D0F
	v_mul_f32_e32 v134, v21, v134                              // 000000004B24: 0B0D0D15
	v_mul_f32_e32 v135, v15, v135                              // 000000004B28: 0B0F0F0F
	v_mul_f32_e32 v135, v21, v135                              // 000000004B2C: 0B0F0F15
	v_mul_f32_dpp v132, v16, v132 row_newbcast:0 row_mask:0xf bank_mask:0xf// 000000004B30: 0B0908FA FF015010
	v_mul_f32_dpp v133, v16, v133 row_newbcast:1 row_mask:0xf bank_mask:0xf// 000000004B38: 0B0B0AFA FF015110
	v_mul_f32_dpp v134, v16, v134 row_newbcast:2 row_mask:0xf bank_mask:0xf// 000000004B40: 0B0D0CFA FF015210
	v_mul_f32_dpp v135, v16, v135 row_newbcast:3 row_mask:0xf bank_mask:0xf// 000000004B48: 0B0F0EFA FF015310
	v_mul_f32_e32 v136, v14, v136                              // 000000004B50: 0B11110E
	v_mul_f32_e32 v136, v20, v136                              // 000000004B54: 0B111114
	v_mul_f32_e32 v137, v14, v137                              // 000000004B58: 0B13130E
	v_mul_f32_e32 v137, v20, v137                              // 000000004B5C: 0B131314
	v_mul_f32_e32 v138, v14, v138                              // 000000004B60: 0B15150E
	v_mul_f32_e32 v138, v20, v138                              // 000000004B64: 0B151514
	v_mul_f32_e32 v139, v14, v139                              // 000000004B68: 0B17170E
	v_mul_f32_e32 v139, v20, v139                              // 000000004B6C: 0B171714
	v_mul_f32_dpp v136, v16, v136 row_newbcast:4 row_mask:0xf bank_mask:0xf// 000000004B70: 0B1110FA FF015410
	v_mul_f32_dpp v137, v16, v137 row_newbcast:5 row_mask:0xf bank_mask:0xf// 000000004B78: 0B1312FA FF015510
	v_mul_f32_dpp v138, v16, v138 row_newbcast:6 row_mask:0xf bank_mask:0xf// 000000004B80: 0B1514FA FF015610
	v_mul_f32_dpp v139, v16, v139 row_newbcast:7 row_mask:0xf bank_mask:0xf// 000000004B88: 0B1716FA FF015710
	v_mul_f32_e32 v140, v15, v140                              // 000000004B90: 0B19190F
	v_mul_f32_e32 v140, v21, v140                              // 000000004B94: 0B191915
	v_mul_f32_e32 v141, v15, v141                              // 000000004B98: 0B1B1B0F
	v_mul_f32_e32 v141, v21, v141                              // 000000004B9C: 0B1B1B15
	v_mul_f32_e32 v142, v15, v142                              // 000000004BA0: 0B1D1D0F
	v_mul_f32_e32 v142, v21, v142                              // 000000004BA4: 0B1D1D15
	v_mul_f32_e32 v143, v15, v143                              // 000000004BA8: 0B1F1F0F
	v_mul_f32_e32 v143, v21, v143                              // 000000004BAC: 0B1F1F15
	v_mul_f32_dpp v140, v16, v140 row_newbcast:4 row_mask:0xf bank_mask:0xf// 000000004BB0: 0B1918FA FF015410
	v_mul_f32_dpp v141, v16, v141 row_newbcast:5 row_mask:0xf bank_mask:0xf// 000000004BB8: 0B1B1AFA FF015510
	v_mul_f32_dpp v142, v16, v142 row_newbcast:6 row_mask:0xf bank_mask:0xf// 000000004BC0: 0B1D1CFA FF015610
	v_mul_f32_dpp v143, v16, v143 row_newbcast:7 row_mask:0xf bank_mask:0xf// 000000004BC8: 0B1F1EFA FF015710
	v_mul_f32_e32 v144, v14, v144                              // 000000004BD0: 0B21210E
	v_mul_f32_e32 v144, v20, v144                              // 000000004BD4: 0B212114
	v_mul_f32_e32 v145, v14, v145                              // 000000004BD8: 0B23230E
	v_mul_f32_e32 v145, v20, v145                              // 000000004BDC: 0B232314
	v_mul_f32_e32 v146, v14, v146                              // 000000004BE0: 0B25250E
	v_mul_f32_e32 v146, v20, v146                              // 000000004BE4: 0B252514
	v_mul_f32_e32 v147, v14, v147                              // 000000004BE8: 0B27270E
	v_mul_f32_e32 v147, v20, v147                              // 000000004BEC: 0B272714
	v_mul_f32_dpp v144, v16, v144 row_newbcast:8 row_mask:0xf bank_mask:0xf// 000000004BF0: 0B2120FA FF015810
	v_mul_f32_dpp v145, v16, v145 row_newbcast:9 row_mask:0xf bank_mask:0xf// 000000004BF8: 0B2322FA FF015910
	v_mul_f32_dpp v146, v16, v146 row_newbcast:10 row_mask:0xf bank_mask:0xf// 000000004C00: 0B2524FA FF015A10
	v_mul_f32_dpp v147, v16, v147 row_newbcast:11 row_mask:0xf bank_mask:0xf// 000000004C08: 0B2726FA FF015B10
	v_mul_f32_e32 v148, v15, v148                              // 000000004C10: 0B29290F
	v_mul_f32_e32 v148, v21, v148                              // 000000004C14: 0B292915
	v_mul_f32_e32 v149, v15, v149                              // 000000004C18: 0B2B2B0F
	v_mul_f32_e32 v149, v21, v149                              // 000000004C1C: 0B2B2B15
	v_mul_f32_e32 v150, v15, v150                              // 000000004C20: 0B2D2D0F
	v_mul_f32_e32 v150, v21, v150                              // 000000004C24: 0B2D2D15
	v_mul_f32_e32 v151, v15, v151                              // 000000004C28: 0B2F2F0F
	v_mul_f32_e32 v151, v21, v151                              // 000000004C2C: 0B2F2F15
	v_mul_f32_dpp v148, v16, v148 row_newbcast:8 row_mask:0xf bank_mask:0xf// 000000004C30: 0B2928FA FF015810
	v_mul_f32_dpp v149, v16, v149 row_newbcast:9 row_mask:0xf bank_mask:0xf// 000000004C38: 0B2B2AFA FF015910
	v_mul_f32_dpp v150, v16, v150 row_newbcast:10 row_mask:0xf bank_mask:0xf// 000000004C40: 0B2D2CFA FF015A10
	v_mul_f32_dpp v151, v16, v151 row_newbcast:11 row_mask:0xf bank_mask:0xf// 000000004C48: 0B2F2EFA FF015B10
	v_mul_f32_e32 v152, v14, v152                              // 000000004C50: 0B31310E
	v_mul_f32_e32 v152, v20, v152                              // 000000004C54: 0B313114
	v_mul_f32_e32 v153, v14, v153                              // 000000004C58: 0B33330E
	v_mul_f32_e32 v153, v20, v153                              // 000000004C5C: 0B333314
	v_mul_f32_e32 v154, v14, v154                              // 000000004C60: 0B35350E
	v_mul_f32_e32 v154, v20, v154                              // 000000004C64: 0B353514
	v_mul_f32_e32 v155, v14, v155                              // 000000004C68: 0B37370E
	v_mul_f32_e32 v155, v20, v155                              // 000000004C6C: 0B373714
	v_mul_f32_dpp v152, v16, v152 row_newbcast:12 row_mask:0xf bank_mask:0xf// 000000004C70: 0B3130FA FF015C10
	v_mul_f32_dpp v153, v16, v153 row_newbcast:13 row_mask:0xf bank_mask:0xf// 000000004C78: 0B3332FA FF015D10
	v_mul_f32_dpp v154, v16, v154 row_newbcast:14 row_mask:0xf bank_mask:0xf// 000000004C80: 0B3534FA FF015E10
	v_mul_f32_dpp v155, v16, v155 row_newbcast:15 row_mask:0xf bank_mask:0xf// 000000004C88: 0B3736FA FF015F10
	v_mul_f32_e32 v156, v15, v156                              // 000000004C90: 0B39390F
	v_mul_f32_e32 v156, v21, v156                              // 000000004C94: 0B393915
	v_mul_f32_e32 v157, v15, v157                              // 000000004C98: 0B3B3B0F
	v_mul_f32_e32 v157, v21, v157                              // 000000004C9C: 0B3B3B15
	v_mul_f32_e32 v158, v15, v158                              // 000000004CA0: 0B3D3D0F
	v_mul_f32_e32 v158, v21, v158                              // 000000004CA4: 0B3D3D15
	v_mul_f32_e32 v159, v15, v159                              // 000000004CA8: 0B3F3F0F
	v_mul_f32_e32 v159, v21, v159                              // 000000004CAC: 0B3F3F15
	v_mul_f32_dpp v156, v16, v156 row_newbcast:12 row_mask:0xf bank_mask:0xf// 000000004CB0: 0B3938FA FF015C10
	v_mul_f32_dpp v157, v16, v157 row_newbcast:13 row_mask:0xf bank_mask:0xf// 000000004CB8: 0B3B3AFA FF015D10
	v_mul_f32_dpp v158, v16, v158 row_newbcast:14 row_mask:0xf bank_mask:0xf// 000000004CC0: 0B3D3CFA FF015E10
	v_mul_f32_dpp v159, v16, v159 row_newbcast:15 row_mask:0xf bank_mask:0xf// 000000004CC8: 0B3F3EFA FF015F10
	v_mul_f32_e32 v160, v14, v160                              // 000000004CD0: 0B41410E
	v_mul_f32_e32 v160, v20, v160                              // 000000004CD4: 0B414114
	v_mul_f32_e32 v161, v14, v161                              // 000000004CD8: 0B43430E
	v_mul_f32_e32 v161, v20, v161                              // 000000004CDC: 0B434314
	v_mul_f32_e32 v162, v14, v162                              // 000000004CE0: 0B45450E
	v_mul_f32_e32 v162, v20, v162                              // 000000004CE4: 0B454514
	v_mul_f32_e32 v163, v14, v163                              // 000000004CE8: 0B47470E
	v_mul_f32_e32 v163, v20, v163                              // 000000004CEC: 0B474714
	v_mul_f32_dpp v160, v17, v160 row_newbcast:0 row_mask:0xf bank_mask:0xf// 000000004CF0: 0B4140FA FF015011
	v_mul_f32_dpp v161, v17, v161 row_newbcast:1 row_mask:0xf bank_mask:0xf// 000000004CF8: 0B4342FA FF015111
	v_mul_f32_dpp v162, v17, v162 row_newbcast:2 row_mask:0xf bank_mask:0xf// 000000004D00: 0B4544FA FF015211
	v_mul_f32_dpp v163, v17, v163 row_newbcast:3 row_mask:0xf bank_mask:0xf// 000000004D08: 0B4746FA FF015311
	v_mul_f32_e32 v164, v15, v164                              // 000000004D10: 0B49490F
	v_mul_f32_e32 v164, v21, v164                              // 000000004D14: 0B494915
	v_mul_f32_e32 v165, v15, v165                              // 000000004D18: 0B4B4B0F
	v_mul_f32_e32 v165, v21, v165                              // 000000004D1C: 0B4B4B15
	v_mul_f32_e32 v166, v15, v166                              // 000000004D20: 0B4D4D0F
	v_mul_f32_e32 v166, v21, v166                              // 000000004D24: 0B4D4D15
	v_mul_f32_e32 v167, v15, v167                              // 000000004D28: 0B4F4F0F
	v_mul_f32_e32 v167, v21, v167                              // 000000004D2C: 0B4F4F15
	v_mul_f32_dpp v164, v17, v164 row_newbcast:0 row_mask:0xf bank_mask:0xf// 000000004D30: 0B4948FA FF015011
	v_mul_f32_dpp v165, v17, v165 row_newbcast:1 row_mask:0xf bank_mask:0xf// 000000004D38: 0B4B4AFA FF015111
	v_mul_f32_dpp v166, v17, v166 row_newbcast:2 row_mask:0xf bank_mask:0xf// 000000004D40: 0B4D4CFA FF015211
	v_mul_f32_dpp v167, v17, v167 row_newbcast:3 row_mask:0xf bank_mask:0xf// 000000004D48: 0B4F4EFA FF015311
	v_mul_f32_e32 v168, v14, v168                              // 000000004D50: 0B51510E
	v_mul_f32_e32 v168, v20, v168                              // 000000004D54: 0B515114
	v_mul_f32_e32 v169, v14, v169                              // 000000004D58: 0B53530E
	v_mul_f32_e32 v169, v20, v169                              // 000000004D5C: 0B535314
	v_mul_f32_e32 v170, v14, v170                              // 000000004D60: 0B55550E
	v_mul_f32_e32 v170, v20, v170                              // 000000004D64: 0B555514
	v_mul_f32_e32 v171, v14, v171                              // 000000004D68: 0B57570E
	v_mul_f32_e32 v171, v20, v171                              // 000000004D6C: 0B575714
	v_mul_f32_dpp v168, v17, v168 row_newbcast:4 row_mask:0xf bank_mask:0xf// 000000004D70: 0B5150FA FF015411
	v_mul_f32_dpp v169, v17, v169 row_newbcast:5 row_mask:0xf bank_mask:0xf// 000000004D78: 0B5352FA FF015511
	v_mul_f32_dpp v170, v17, v170 row_newbcast:6 row_mask:0xf bank_mask:0xf// 000000004D80: 0B5554FA FF015611
	v_mul_f32_dpp v171, v17, v171 row_newbcast:7 row_mask:0xf bank_mask:0xf// 000000004D88: 0B5756FA FF015711
	v_mul_f32_e32 v172, v15, v172                              // 000000004D90: 0B59590F
	v_mul_f32_e32 v172, v21, v172                              // 000000004D94: 0B595915
	v_mul_f32_e32 v173, v15, v173                              // 000000004D98: 0B5B5B0F
	v_mul_f32_e32 v173, v21, v173                              // 000000004D9C: 0B5B5B15
	v_mul_f32_e32 v174, v15, v174                              // 000000004DA0: 0B5D5D0F
	v_mul_f32_e32 v174, v21, v174                              // 000000004DA4: 0B5D5D15
	v_mul_f32_e32 v175, v15, v175                              // 000000004DA8: 0B5F5F0F
	v_mul_f32_e32 v175, v21, v175                              // 000000004DAC: 0B5F5F15
	v_mul_f32_dpp v172, v17, v172 row_newbcast:4 row_mask:0xf bank_mask:0xf// 000000004DB0: 0B5958FA FF015411
	v_mul_f32_dpp v173, v17, v173 row_newbcast:5 row_mask:0xf bank_mask:0xf// 000000004DB8: 0B5B5AFA FF015511
	v_mul_f32_dpp v174, v17, v174 row_newbcast:6 row_mask:0xf bank_mask:0xf// 000000004DC0: 0B5D5CFA FF015611
	v_mul_f32_dpp v175, v17, v175 row_newbcast:7 row_mask:0xf bank_mask:0xf// 000000004DC8: 0B5F5EFA FF015711
	v_mul_f32_e32 v64, v14, v64                                // 000000004DD0: 0A80810E
	v_mul_f32_e32 v64, v20, v64                                // 000000004DD4: 0A808114
	v_mul_f32_e32 v65, v14, v65                                // 000000004DD8: 0A82830E
	v_mul_f32_e32 v65, v20, v65                                // 000000004DDC: 0A828314
	v_mul_f32_e32 v66, v14, v66                                // 000000004DE0: 0A84850E
	v_mul_f32_e32 v66, v20, v66                                // 000000004DE4: 0A848514
	v_mul_f32_e32 v67, v14, v67                                // 000000004DE8: 0A86870E
	v_mul_f32_e32 v67, v20, v67                                // 000000004DEC: 0A868714
	v_mul_f32_dpp v64, v48, v64 row_newbcast:0 row_mask:0xf bank_mask:0xf// 000000004DF0: 0A8080FA FF015030
	v_mul_f32_dpp v65, v48, v65 row_newbcast:1 row_mask:0xf bank_mask:0xf// 000000004DF8: 0A8282FA FF015130
	v_mul_f32_dpp v66, v48, v66 row_newbcast:2 row_mask:0xf bank_mask:0xf// 000000004E00: 0A8484FA FF015230
	v_mul_f32_dpp v67, v48, v67 row_newbcast:3 row_mask:0xf bank_mask:0xf// 000000004E08: 0A8686FA FF015330
	v_mul_f32_e32 v68, v15, v68                                // 000000004E10: 0A88890F
	v_mul_f32_e32 v68, v21, v68                                // 000000004E14: 0A888915
	v_mul_f32_e32 v69, v15, v69                                // 000000004E18: 0A8A8B0F
	v_mul_f32_e32 v69, v21, v69                                // 000000004E1C: 0A8A8B15
	v_mul_f32_e32 v70, v15, v70                                // 000000004E20: 0A8C8D0F
	v_mul_f32_e32 v70, v21, v70                                // 000000004E24: 0A8C8D15
	v_mul_f32_e32 v71, v15, v71                                // 000000004E28: 0A8E8F0F
	v_mul_f32_e32 v71, v21, v71                                // 000000004E2C: 0A8E8F15
	v_mul_f32_dpp v68, v48, v68 row_newbcast:0 row_mask:0xf bank_mask:0xf// 000000004E30: 0A8888FA FF015030
	v_mul_f32_dpp v69, v48, v69 row_newbcast:1 row_mask:0xf bank_mask:0xf// 000000004E38: 0A8A8AFA FF015130
	v_mul_f32_dpp v70, v48, v70 row_newbcast:2 row_mask:0xf bank_mask:0xf// 000000004E40: 0A8C8CFA FF015230
	v_mul_f32_dpp v71, v48, v71 row_newbcast:3 row_mask:0xf bank_mask:0xf// 000000004E48: 0A8E8EFA FF015330
	v_mul_f32_e32 v72, v14, v72                                // 000000004E50: 0A90910E
	v_mul_f32_e32 v72, v20, v72                                // 000000004E54: 0A909114
	v_mul_f32_e32 v73, v14, v73                                // 000000004E58: 0A92930E
	v_mul_f32_e32 v73, v20, v73                                // 000000004E5C: 0A929314
	v_mul_f32_e32 v74, v14, v74                                // 000000004E60: 0A94950E
	v_mul_f32_e32 v74, v20, v74                                // 000000004E64: 0A949514
	v_mul_f32_e32 v75, v14, v75                                // 000000004E68: 0A96970E
	v_mul_f32_e32 v75, v20, v75                                // 000000004E6C: 0A969714
	v_mul_f32_dpp v72, v48, v72 row_newbcast:4 row_mask:0xf bank_mask:0xf// 000000004E70: 0A9090FA FF015430
	v_mul_f32_dpp v73, v48, v73 row_newbcast:5 row_mask:0xf bank_mask:0xf// 000000004E78: 0A9292FA FF015530
	v_mul_f32_dpp v74, v48, v74 row_newbcast:6 row_mask:0xf bank_mask:0xf// 000000004E80: 0A9494FA FF015630
	v_mul_f32_dpp v75, v48, v75 row_newbcast:7 row_mask:0xf bank_mask:0xf// 000000004E88: 0A9696FA FF015730
	v_mul_f32_e32 v76, v15, v76                                // 000000004E90: 0A98990F
	v_mul_f32_e32 v76, v21, v76                                // 000000004E94: 0A989915
	v_mul_f32_e32 v77, v15, v77                                // 000000004E98: 0A9A9B0F
	v_mul_f32_e32 v77, v21, v77                                // 000000004E9C: 0A9A9B15
	v_mul_f32_e32 v78, v15, v78                                // 000000004EA0: 0A9C9D0F
	v_mul_f32_e32 v78, v21, v78                                // 000000004EA4: 0A9C9D15
	v_mul_f32_e32 v79, v15, v79                                // 000000004EA8: 0A9E9F0F
	v_mul_f32_e32 v79, v21, v79                                // 000000004EAC: 0A9E9F15
	v_mul_f32_dpp v76, v48, v76 row_newbcast:4 row_mask:0xf bank_mask:0xf// 000000004EB0: 0A9898FA FF015430
	v_mul_f32_dpp v77, v48, v77 row_newbcast:5 row_mask:0xf bank_mask:0xf// 000000004EB8: 0A9A9AFA FF015530
	v_mul_f32_dpp v78, v48, v78 row_newbcast:6 row_mask:0xf bank_mask:0xf// 000000004EC0: 0A9C9CFA FF015630
	v_mul_f32_dpp v79, v48, v79 row_newbcast:7 row_mask:0xf bank_mask:0xf// 000000004EC8: 0A9E9EFA FF015730
	v_mul_f32_e32 v80, v14, v80                                // 000000004ED0: 0AA0A10E
	v_mul_f32_e32 v80, v20, v80                                // 000000004ED4: 0AA0A114
	v_mul_f32_e32 v81, v14, v81                                // 000000004ED8: 0AA2A30E
	v_mul_f32_e32 v81, v20, v81                                // 000000004EDC: 0AA2A314
	v_mul_f32_e32 v82, v14, v82                                // 000000004EE0: 0AA4A50E
	v_mul_f32_e32 v82, v20, v82                                // 000000004EE4: 0AA4A514
	v_mul_f32_e32 v83, v14, v83                                // 000000004EE8: 0AA6A70E
	v_mul_f32_e32 v83, v20, v83                                // 000000004EEC: 0AA6A714
	v_mul_f32_dpp v80, v48, v80 row_newbcast:8 row_mask:0xf bank_mask:0xf// 000000004EF0: 0AA0A0FA FF015830
	v_mul_f32_dpp v81, v48, v81 row_newbcast:9 row_mask:0xf bank_mask:0xf// 000000004EF8: 0AA2A2FA FF015930
	v_mul_f32_dpp v82, v48, v82 row_newbcast:10 row_mask:0xf bank_mask:0xf// 000000004F00: 0AA4A4FA FF015A30
	v_mul_f32_dpp v83, v48, v83 row_newbcast:11 row_mask:0xf bank_mask:0xf// 000000004F08: 0AA6A6FA FF015B30
	v_mul_f32_e32 v84, v15, v84                                // 000000004F10: 0AA8A90F
	v_mul_f32_e32 v84, v21, v84                                // 000000004F14: 0AA8A915
	v_mul_f32_e32 v85, v15, v85                                // 000000004F18: 0AAAAB0F
	v_mul_f32_e32 v85, v21, v85                                // 000000004F1C: 0AAAAB15
	v_mul_f32_e32 v86, v15, v86                                // 000000004F20: 0AACAD0F
	v_mul_f32_e32 v86, v21, v86                                // 000000004F24: 0AACAD15
	v_mul_f32_e32 v87, v15, v87                                // 000000004F28: 0AAEAF0F
	v_mul_f32_e32 v87, v21, v87                                // 000000004F2C: 0AAEAF15
	v_mul_f32_dpp v84, v48, v84 row_newbcast:8 row_mask:0xf bank_mask:0xf// 000000004F30: 0AA8A8FA FF015830
	v_mul_f32_dpp v85, v48, v85 row_newbcast:9 row_mask:0xf bank_mask:0xf// 000000004F38: 0AAAAAFA FF015930
	v_mul_f32_dpp v86, v48, v86 row_newbcast:10 row_mask:0xf bank_mask:0xf// 000000004F40: 0AACACFA FF015A30
	v_mul_f32_dpp v87, v48, v87 row_newbcast:11 row_mask:0xf bank_mask:0xf// 000000004F48: 0AAEAEFA FF015B30
	v_mul_f32_e32 v88, v14, v88                                // 000000004F50: 0AB0B10E
	v_mul_f32_e32 v88, v20, v88                                // 000000004F54: 0AB0B114
	v_mul_f32_e32 v89, v14, v89                                // 000000004F58: 0AB2B30E
	v_mul_f32_e32 v89, v20, v89                                // 000000004F5C: 0AB2B314
	v_mul_f32_e32 v90, v14, v90                                // 000000004F60: 0AB4B50E
	v_mul_f32_e32 v90, v20, v90                                // 000000004F64: 0AB4B514
	v_mul_f32_e32 v91, v14, v91                                // 000000004F68: 0AB6B70E
	v_mul_f32_e32 v91, v20, v91                                // 000000004F6C: 0AB6B714
	v_mul_f32_dpp v88, v48, v88 row_newbcast:12 row_mask:0xf bank_mask:0xf// 000000004F70: 0AB0B0FA FF015C30
	v_mul_f32_dpp v89, v48, v89 row_newbcast:13 row_mask:0xf bank_mask:0xf// 000000004F78: 0AB2B2FA FF015D30
	v_mul_f32_dpp v90, v48, v90 row_newbcast:14 row_mask:0xf bank_mask:0xf// 000000004F80: 0AB4B4FA FF015E30
	v_mul_f32_dpp v91, v48, v91 row_newbcast:15 row_mask:0xf bank_mask:0xf// 000000004F88: 0AB6B6FA FF015F30
	v_mul_f32_e32 v92, v15, v92                                // 000000004F90: 0AB8B90F
	v_mul_f32_e32 v92, v21, v92                                // 000000004F94: 0AB8B915
	v_mul_f32_e32 v93, v15, v93                                // 000000004F98: 0ABABB0F
	v_mul_f32_e32 v93, v21, v93                                // 000000004F9C: 0ABABB15
	v_mul_f32_e32 v94, v15, v94                                // 000000004FA0: 0ABCBD0F
	v_mul_f32_e32 v94, v21, v94                                // 000000004FA4: 0ABCBD15
	v_mul_f32_e32 v95, v15, v95                                // 000000004FA8: 0ABEBF0F
	v_mul_f32_e32 v95, v21, v95                                // 000000004FAC: 0ABEBF15
	v_mul_f32_dpp v92, v48, v92 row_newbcast:12 row_mask:0xf bank_mask:0xf// 000000004FB0: 0AB8B8FA FF015C30
	v_mul_f32_dpp v93, v48, v93 row_newbcast:13 row_mask:0xf bank_mask:0xf// 000000004FB8: 0ABABAFA FF015D30
	v_mul_f32_dpp v94, v48, v94 row_newbcast:14 row_mask:0xf bank_mask:0xf// 000000004FC0: 0ABCBCFA FF015E30
	v_mul_f32_dpp v95, v48, v95 row_newbcast:15 row_mask:0xf bank_mask:0xf// 000000004FC8: 0ABEBEFA FF015F30
	v_mul_f32_e32 v96, v14, v96                                // 000000004FD0: 0AC0C10E
	v_mul_f32_e32 v96, v20, v96                                // 000000004FD4: 0AC0C114
	v_mul_f32_e32 v97, v14, v97                                // 000000004FD8: 0AC2C30E
	v_mul_f32_e32 v97, v20, v97                                // 000000004FDC: 0AC2C314
	v_mul_f32_e32 v98, v14, v98                                // 000000004FE0: 0AC4C50E
	v_mul_f32_e32 v98, v20, v98                                // 000000004FE4: 0AC4C514
	v_mul_f32_e32 v99, v14, v99                                // 000000004FE8: 0AC6C70E
	v_mul_f32_e32 v99, v20, v99                                // 000000004FEC: 0AC6C714
	v_mul_f32_dpp v96, v49, v96 row_newbcast:0 row_mask:0xf bank_mask:0xf// 000000004FF0: 0AC0C0FA FF015031
	v_mul_f32_dpp v97, v49, v97 row_newbcast:1 row_mask:0xf bank_mask:0xf// 000000004FF8: 0AC2C2FA FF015131
	v_mul_f32_dpp v98, v49, v98 row_newbcast:2 row_mask:0xf bank_mask:0xf// 000000005000: 0AC4C4FA FF015231
	v_mul_f32_dpp v99, v49, v99 row_newbcast:3 row_mask:0xf bank_mask:0xf// 000000005008: 0AC6C6FA FF015331
	v_mul_f32_e32 v100, v15, v100                              // 000000005010: 0AC8C90F
	v_mul_f32_e32 v100, v21, v100                              // 000000005014: 0AC8C915
	v_mul_f32_e32 v101, v15, v101                              // 000000005018: 0ACACB0F
	v_mul_f32_e32 v101, v21, v101                              // 00000000501C: 0ACACB15
	v_mul_f32_e32 v102, v15, v102                              // 000000005020: 0ACCCD0F
	v_mul_f32_e32 v102, v21, v102                              // 000000005024: 0ACCCD15
	v_mul_f32_e32 v103, v15, v103                              // 000000005028: 0ACECF0F
	v_mul_f32_e32 v103, v21, v103                              // 00000000502C: 0ACECF15
	v_mul_f32_dpp v100, v49, v100 row_newbcast:0 row_mask:0xf bank_mask:0xf// 000000005030: 0AC8C8FA FF015031
	v_mul_f32_dpp v101, v49, v101 row_newbcast:1 row_mask:0xf bank_mask:0xf// 000000005038: 0ACACAFA FF015131
	v_mul_f32_dpp v102, v49, v102 row_newbcast:2 row_mask:0xf bank_mask:0xf// 000000005040: 0ACCCCFA FF015231
	v_mul_f32_dpp v103, v49, v103 row_newbcast:3 row_mask:0xf bank_mask:0xf// 000000005048: 0ACECEFA FF015331
	v_mul_f32_e32 v104, v14, v104                              // 000000005050: 0AD0D10E
	v_mul_f32_e32 v104, v20, v104                              // 000000005054: 0AD0D114
	v_mul_f32_e32 v105, v14, v105                              // 000000005058: 0AD2D30E
	v_mul_f32_e32 v105, v20, v105                              // 00000000505C: 0AD2D314
	v_mul_f32_e32 v106, v14, v106                              // 000000005060: 0AD4D50E
	v_mul_f32_e32 v106, v20, v106                              // 000000005064: 0AD4D514
	v_mul_f32_e32 v107, v14, v107                              // 000000005068: 0AD6D70E
	v_mul_f32_e32 v107, v20, v107                              // 00000000506C: 0AD6D714
	v_mul_f32_dpp v104, v49, v104 row_newbcast:4 row_mask:0xf bank_mask:0xf// 000000005070: 0AD0D0FA FF015431
	v_mul_f32_dpp v105, v49, v105 row_newbcast:5 row_mask:0xf bank_mask:0xf// 000000005078: 0AD2D2FA FF015531
	v_mul_f32_dpp v106, v49, v106 row_newbcast:6 row_mask:0xf bank_mask:0xf// 000000005080: 0AD4D4FA FF015631
	v_mul_f32_dpp v107, v49, v107 row_newbcast:7 row_mask:0xf bank_mask:0xf// 000000005088: 0AD6D6FA FF015731
	v_mul_f32_e32 v108, v15, v108                              // 000000005090: 0AD8D90F
	v_mul_f32_e32 v108, v21, v108                              // 000000005094: 0AD8D915
	v_mul_f32_e32 v109, v15, v109                              // 000000005098: 0ADADB0F
	v_mul_f32_e32 v109, v21, v109                              // 00000000509C: 0ADADB15
	v_mul_f32_e32 v110, v15, v110                              // 0000000050A0: 0ADCDD0F
	v_mul_f32_e32 v110, v21, v110                              // 0000000050A4: 0ADCDD15
	v_mul_f32_e32 v111, v15, v111                              // 0000000050A8: 0ADEDF0F
	v_mul_f32_e32 v111, v21, v111                              // 0000000050AC: 0ADEDF15
	v_mul_f32_dpp v108, v49, v108 row_newbcast:4 row_mask:0xf bank_mask:0xf// 0000000050B0: 0AD8D8FA FF015431
	v_mul_f32_dpp v109, v49, v109 row_newbcast:5 row_mask:0xf bank_mask:0xf// 0000000050B8: 0ADADAFA FF015531
	v_mul_f32_dpp v110, v49, v110 row_newbcast:6 row_mask:0xf bank_mask:0xf// 0000000050C0: 0ADCDCFA FF015631
	v_mul_f32_dpp v111, v49, v111 row_newbcast:7 row_mask:0xf bank_mask:0xf// 0000000050C8: 0ADEDEFA FF015731
	s_waitcnt vmcnt(20)                                        // 0000000050D0: BF8C4F74
	buffer_load_dwordx4 a[0:3], v40, s[12:15], 0 offen         // 0000000050D4: E05C1000 80830028
	v_mul_f32_e64 v50, -v128, s6                               // 0000000050DC: D1050032 20000D80
	v_mul_f32_e64 v51, -v129, s6                               // 0000000050E4: D1050033 20000D81
	v_mul_f32_e64 v52, -v130, s6                               // 0000000050EC: D1050034 20000D82
	v_mul_f32_e64 v53, -v131, s6                               // 0000000050F4: D1050035 20000D83
	v_exp_f32_e32 v50, v50                                     // 0000000050FC: 7E644132
	v_exp_f32_e32 v51, v51                                     // 000000005100: 7E664133
	v_exp_f32_e32 v52, v52                                     // 000000005104: 7E684134
	v_exp_f32_e32 v53, v53                                     // 000000005108: 7E6A4135
	buffer_load_dwordx4 a[4:7], v41, s[12:15], 0 offen         // 00000000510C: E05C1000 80830429
	v_add_f32_e64 v50, v50, 1.0                                // 000000005114: D1010032 0001E532
	v_add_f32_e64 v51, v51, 1.0                                // 00000000511C: D1010033 0001E533
	v_add_f32_e64 v52, v52, 1.0                                // 000000005124: D1010034 0001E534
	v_add_f32_e64 v53, v53, 1.0                                // 00000000512C: D1010035 0001E535
	v_rcp_f32_e32 v50, v50                                     // 000000005134: 7E644532
	v_rcp_f32_e32 v51, v51                                     // 000000005138: 7E664533
	v_rcp_f32_e32 v52, v52                                     // 00000000513C: 7E684534
	v_rcp_f32_e32 v53, v53                                     // 000000005140: 7E6A4535
	v_mul_f32_e32 v128, v128, v50                              // 000000005144: 0B006580
	v_mul_f32_e32 v129, v129, v51                              // 000000005148: 0B026781
	v_mul_f32_e32 v130, v130, v52                              // 00000000514C: 0B046982
	v_mul_f32_e32 v131, v131, v53                              // 000000005150: 0B066B83
	v_mul_f32_e32 v128, v128, v64                              // 000000005154: 0B008180
	v_mul_f32_e32 v129, v129, v65                              // 000000005158: 0B028381
	v_mul_f32_e32 v130, v130, v66                              // 00000000515C: 0B048582
	v_mul_f32_e32 v131, v131, v67                              // 000000005160: 0B068783
	buffer_load_dwordx4 a[8:11], v42, s[12:15], 0 offen        // 000000005164: E05C1000 8083082A
	v_mul_f32_e64 v50, -v132, s6                               // 00000000516C: D1050032 20000D84
	v_mul_f32_e64 v51, -v133, s6                               // 000000005174: D1050033 20000D85
	v_mul_f32_e64 v52, -v134, s6                               // 00000000517C: D1050034 20000D86
	v_mul_f32_e64 v53, -v135, s6                               // 000000005184: D1050035 20000D87
	v_exp_f32_e32 v50, v50                                     // 00000000518C: 7E644132
	v_exp_f32_e32 v51, v51                                     // 000000005190: 7E664133
	v_exp_f32_e32 v52, v52                                     // 000000005194: 7E684134
	v_exp_f32_e32 v53, v53                                     // 000000005198: 7E6A4135
	buffer_load_dwordx4 a[12:15], v43, s[12:15], 0 offen       // 00000000519C: E05C1000 80830C2B
	s_add_u32 s12, s78, s12                                    // 0000000051A4: 800C0C4E
	s_addc_u32 s13, 0, s13                                     // 0000000051A8: 820D0D80
	v_add_f32_e64 v50, v50, 1.0                                // 0000000051AC: D1010032 0001E532
	v_add_f32_e64 v51, v51, 1.0                                // 0000000051B4: D1010033 0001E533
	v_add_f32_e64 v52, v52, 1.0                                // 0000000051BC: D1010034 0001E534
	v_add_f32_e64 v53, v53, 1.0                                // 0000000051C4: D1010035 0001E535
	v_rcp_f32_e32 v50, v50                                     // 0000000051CC: 7E644532
	v_rcp_f32_e32 v51, v51                                     // 0000000051D0: 7E664533
	v_rcp_f32_e32 v52, v52                                     // 0000000051D4: 7E684534
	v_rcp_f32_e32 v53, v53                                     // 0000000051D8: 7E6A4535
	v_mul_f32_e32 v132, v132, v50                              // 0000000051DC: 0B086584
	v_mul_f32_e32 v133, v133, v51                              // 0000000051E0: 0B0A6785
	v_mul_f32_e32 v134, v134, v52                              // 0000000051E4: 0B0C6986
	v_mul_f32_e32 v135, v135, v53                              // 0000000051E8: 0B0E6B87
	v_mul_f32_e32 v132, v132, v68                              // 0000000051EC: 0B088984
	v_mul_f32_e32 v133, v133, v69                              // 0000000051F0: 0B0A8B85
	v_mul_f32_e32 v134, v134, v70                              // 0000000051F4: 0B0C8D86
	v_mul_f32_e32 v135, v135, v71                              // 0000000051F8: 0B0E8F87
	s_waitcnt vmcnt(20)                                        // 0000000051FC: BF8C4F74
	buffer_load_dwordx4 a[16:19], v40, s[12:15], 0 offen       // 000000005200: E05C1000 80831028
	v_mul_f32_e64 v50, -v136, s6                               // 000000005208: D1050032 20000D88
	v_mul_f32_e64 v51, -v137, s6                               // 000000005210: D1050033 20000D89
	v_mul_f32_e64 v52, -v138, s6                               // 000000005218: D1050034 20000D8A
	v_mul_f32_e64 v53, -v139, s6                               // 000000005220: D1050035 20000D8B
	v_exp_f32_e32 v50, v50                                     // 000000005228: 7E644132
	v_exp_f32_e32 v51, v51                                     // 00000000522C: 7E664133
	v_exp_f32_e32 v52, v52                                     // 000000005230: 7E684134
	v_exp_f32_e32 v53, v53                                     // 000000005234: 7E6A4135
	buffer_load_dwordx4 a[20:23], v41, s[12:15], 0 offen       // 000000005238: E05C1000 80831429
	v_add_f32_e64 v50, v50, 1.0                                // 000000005240: D1010032 0001E532
	v_add_f32_e64 v51, v51, 1.0                                // 000000005248: D1010033 0001E533
	v_add_f32_e64 v52, v52, 1.0                                // 000000005250: D1010034 0001E534
	v_add_f32_e64 v53, v53, 1.0                                // 000000005258: D1010035 0001E535
	v_rcp_f32_e32 v50, v50                                     // 000000005260: 7E644532
	v_rcp_f32_e32 v51, v51                                     // 000000005264: 7E664533
	v_rcp_f32_e32 v52, v52                                     // 000000005268: 7E684534
	v_rcp_f32_e32 v53, v53                                     // 00000000526C: 7E6A4535
	v_mul_f32_e32 v136, v136, v50                              // 000000005270: 0B106588
	v_mul_f32_e32 v137, v137, v51                              // 000000005274: 0B126789
	v_mul_f32_e32 v138, v138, v52                              // 000000005278: 0B14698A
	v_mul_f32_e32 v139, v139, v53                              // 00000000527C: 0B166B8B
	v_mul_f32_e32 v136, v136, v72                              // 000000005280: 0B109188
	v_mul_f32_e32 v137, v137, v73                              // 000000005284: 0B129389
	v_mul_f32_e32 v138, v138, v74                              // 000000005288: 0B14958A
	v_mul_f32_e32 v139, v139, v75                              // 00000000528C: 0B16978B
	buffer_load_dwordx4 a[24:27], v42, s[12:15], 0 offen       // 000000005290: E05C1000 8083182A
	v_mul_f32_e64 v50, -v140, s6                               // 000000005298: D1050032 20000D8C
	v_mul_f32_e64 v51, -v141, s6                               // 0000000052A0: D1050033 20000D8D
	v_mul_f32_e64 v52, -v142, s6                               // 0000000052A8: D1050034 20000D8E
	v_mul_f32_e64 v53, -v143, s6                               // 0000000052B0: D1050035 20000D8F
	v_exp_f32_e32 v50, v50                                     // 0000000052B8: 7E644132
	v_exp_f32_e32 v51, v51                                     // 0000000052BC: 7E664133
	v_exp_f32_e32 v52, v52                                     // 0000000052C0: 7E684134
	v_exp_f32_e32 v53, v53                                     // 0000000052C4: 7E6A4135
	buffer_load_dwordx4 a[28:31], v43, s[12:15], 0 offen       // 0000000052C8: E05C1000 80831C2B
	s_add_u32 s12, s78, s12                                    // 0000000052D0: 800C0C4E
	s_addc_u32 s13, 0, s13                                     // 0000000052D4: 820D0D80
	v_add_f32_e64 v50, v50, 1.0                                // 0000000052D8: D1010032 0001E532
	v_add_f32_e64 v51, v51, 1.0                                // 0000000052E0: D1010033 0001E533
	v_add_f32_e64 v52, v52, 1.0                                // 0000000052E8: D1010034 0001E534
	v_add_f32_e64 v53, v53, 1.0                                // 0000000052F0: D1010035 0001E535
	v_rcp_f32_e32 v50, v50                                     // 0000000052F8: 7E644532
	v_rcp_f32_e32 v51, v51                                     // 0000000052FC: 7E664533
	v_rcp_f32_e32 v52, v52                                     // 000000005300: 7E684534
	v_rcp_f32_e32 v53, v53                                     // 000000005304: 7E6A4535
	v_mul_f32_e32 v140, v140, v50                              // 000000005308: 0B18658C
	v_mul_f32_e32 v141, v141, v51                              // 00000000530C: 0B1A678D
	v_mul_f32_e32 v142, v142, v52                              // 000000005310: 0B1C698E
	v_mul_f32_e32 v143, v143, v53                              // 000000005314: 0B1E6B8F
	v_mul_f32_e32 v140, v140, v76                              // 000000005318: 0B18998C
	v_mul_f32_e32 v141, v141, v77                              // 00000000531C: 0B1A9B8D
	v_mul_f32_e32 v142, v142, v78                              // 000000005320: 0B1C9D8E
	v_mul_f32_e32 v143, v143, v79                              // 000000005324: 0B1E9F8F
	s_waitcnt vmcnt(20)                                        // 000000005328: BF8C4F74
	buffer_load_dwordx4 a[32:35], v40, s[12:15], 0 offen       // 00000000532C: E05C1000 80832028
	v_mul_f32_e64 v50, -v144, s6                               // 000000005334: D1050032 20000D90
	v_mul_f32_e64 v51, -v145, s6                               // 00000000533C: D1050033 20000D91
	v_mul_f32_e64 v52, -v146, s6                               // 000000005344: D1050034 20000D92
	v_mul_f32_e64 v53, -v147, s6                               // 00000000534C: D1050035 20000D93
	v_exp_f32_e32 v50, v50                                     // 000000005354: 7E644132
	v_exp_f32_e32 v51, v51                                     // 000000005358: 7E664133
	v_exp_f32_e32 v52, v52                                     // 00000000535C: 7E684134
	v_exp_f32_e32 v53, v53                                     // 000000005360: 7E6A4135
	buffer_load_dwordx4 a[36:39], v41, s[12:15], 0 offen       // 000000005364: E05C1000 80832429
	v_add_f32_e64 v50, v50, 1.0                                // 00000000536C: D1010032 0001E532
	v_add_f32_e64 v51, v51, 1.0                                // 000000005374: D1010033 0001E533
	v_add_f32_e64 v52, v52, 1.0                                // 00000000537C: D1010034 0001E534
	v_add_f32_e64 v53, v53, 1.0                                // 000000005384: D1010035 0001E535
	v_rcp_f32_e32 v50, v50                                     // 00000000538C: 7E644532
	v_rcp_f32_e32 v51, v51                                     // 000000005390: 7E664533
	v_rcp_f32_e32 v52, v52                                     // 000000005394: 7E684534
	v_rcp_f32_e32 v53, v53                                     // 000000005398: 7E6A4535
	v_mul_f32_e32 v144, v144, v50                              // 00000000539C: 0B206590
	v_mul_f32_e32 v145, v145, v51                              // 0000000053A0: 0B226791
	v_mul_f32_e32 v146, v146, v52                              // 0000000053A4: 0B246992
	v_mul_f32_e32 v147, v147, v53                              // 0000000053A8: 0B266B93
	v_mul_f32_e32 v144, v144, v80                              // 0000000053AC: 0B20A190
	v_mul_f32_e32 v145, v145, v81                              // 0000000053B0: 0B22A391
	v_mul_f32_e32 v146, v146, v82                              // 0000000053B4: 0B24A592
	v_mul_f32_e32 v147, v147, v83                              // 0000000053B8: 0B26A793
	buffer_load_dwordx4 a[40:43], v42, s[12:15], 0 offen       // 0000000053BC: E05C1000 8083282A
	v_mul_f32_e64 v50, -v148, s6                               // 0000000053C4: D1050032 20000D94
	v_mul_f32_e64 v51, -v149, s6                               // 0000000053CC: D1050033 20000D95
	v_mul_f32_e64 v52, -v150, s6                               // 0000000053D4: D1050034 20000D96
	v_mul_f32_e64 v53, -v151, s6                               // 0000000053DC: D1050035 20000D97
	v_exp_f32_e32 v50, v50                                     // 0000000053E4: 7E644132
	v_exp_f32_e32 v51, v51                                     // 0000000053E8: 7E664133
	v_exp_f32_e32 v52, v52                                     // 0000000053EC: 7E684134
	v_exp_f32_e32 v53, v53                                     // 0000000053F0: 7E6A4135
	buffer_load_dwordx4 a[44:47], v43, s[12:15], 0 offen       // 0000000053F4: E05C1000 80832C2B
	s_add_u32 s12, s78, s12                                    // 0000000053FC: 800C0C4E
	s_addc_u32 s13, 0, s13                                     // 000000005400: 820D0D80
	v_add_f32_e64 v50, v50, 1.0                                // 000000005404: D1010032 0001E532
	v_add_f32_e64 v51, v51, 1.0                                // 00000000540C: D1010033 0001E533
	v_add_f32_e64 v52, v52, 1.0                                // 000000005414: D1010034 0001E534
	v_add_f32_e64 v53, v53, 1.0                                // 00000000541C: D1010035 0001E535
	v_rcp_f32_e32 v50, v50                                     // 000000005424: 7E644532
	v_rcp_f32_e32 v51, v51                                     // 000000005428: 7E664533
	v_rcp_f32_e32 v52, v52                                     // 00000000542C: 7E684534
	v_rcp_f32_e32 v53, v53                                     // 000000005430: 7E6A4535
	v_mul_f32_e32 v148, v148, v50                              // 000000005434: 0B286594
	v_mul_f32_e32 v149, v149, v51                              // 000000005438: 0B2A6795
	v_mul_f32_e32 v150, v150, v52                              // 00000000543C: 0B2C6996
	v_mul_f32_e32 v151, v151, v53                              // 000000005440: 0B2E6B97
	v_mul_f32_e32 v148, v148, v84                              // 000000005444: 0B28A994
	v_mul_f32_e32 v149, v149, v85                              // 000000005448: 0B2AAB95
	v_mul_f32_e32 v150, v150, v86                              // 00000000544C: 0B2CAD96
	v_mul_f32_e32 v151, v151, v87                              // 000000005450: 0B2EAF97
	s_waitcnt vmcnt(20)                                        // 000000005454: BF8C4F74
	buffer_load_dwordx4 a[48:51], v40, s[12:15], 0 offen       // 000000005458: E05C1000 80833028
	v_mul_f32_e64 v50, -v152, s6                               // 000000005460: D1050032 20000D98
	v_mul_f32_e64 v51, -v153, s6                               // 000000005468: D1050033 20000D99
	v_mul_f32_e64 v52, -v154, s6                               // 000000005470: D1050034 20000D9A
	v_mul_f32_e64 v53, -v155, s6                               // 000000005478: D1050035 20000D9B
	v_exp_f32_e32 v50, v50                                     // 000000005480: 7E644132
	v_exp_f32_e32 v51, v51                                     // 000000005484: 7E664133
	v_exp_f32_e32 v52, v52                                     // 000000005488: 7E684134
	v_exp_f32_e32 v53, v53                                     // 00000000548C: 7E6A4135
	buffer_load_dwordx4 a[52:55], v41, s[12:15], 0 offen       // 000000005490: E05C1000 80833429
	v_add_f32_e64 v50, v50, 1.0                                // 000000005498: D1010032 0001E532
	v_add_f32_e64 v51, v51, 1.0                                // 0000000054A0: D1010033 0001E533
	v_add_f32_e64 v52, v52, 1.0                                // 0000000054A8: D1010034 0001E534
	v_add_f32_e64 v53, v53, 1.0                                // 0000000054B0: D1010035 0001E535
	v_rcp_f32_e32 v50, v50                                     // 0000000054B8: 7E644532
	v_rcp_f32_e32 v51, v51                                     // 0000000054BC: 7E664533
	v_rcp_f32_e32 v52, v52                                     // 0000000054C0: 7E684534
	v_rcp_f32_e32 v53, v53                                     // 0000000054C4: 7E6A4535
	v_mul_f32_e32 v152, v152, v50                              // 0000000054C8: 0B306598
	v_mul_f32_e32 v153, v153, v51                              // 0000000054CC: 0B326799
	v_mul_f32_e32 v154, v154, v52                              // 0000000054D0: 0B34699A
	v_mul_f32_e32 v155, v155, v53                              // 0000000054D4: 0B366B9B
	v_mul_f32_e32 v152, v152, v88                              // 0000000054D8: 0B30B198
	v_mul_f32_e32 v153, v153, v89                              // 0000000054DC: 0B32B399
	v_mul_f32_e32 v154, v154, v90                              // 0000000054E0: 0B34B59A
	v_mul_f32_e32 v155, v155, v91                              // 0000000054E4: 0B36B79B
	buffer_load_dwordx4 a[56:59], v42, s[12:15], 0 offen       // 0000000054E8: E05C1000 8083382A
	v_mul_f32_e64 v50, -v156, s6                               // 0000000054F0: D1050032 20000D9C
	v_mul_f32_e64 v51, -v157, s6                               // 0000000054F8: D1050033 20000D9D
	v_mul_f32_e64 v52, -v158, s6                               // 000000005500: D1050034 20000D9E
	v_mul_f32_e64 v53, -v159, s6                               // 000000005508: D1050035 20000D9F
	v_exp_f32_e32 v50, v50                                     // 000000005510: 7E644132
	v_exp_f32_e32 v51, v51                                     // 000000005514: 7E664133
	v_exp_f32_e32 v52, v52                                     // 000000005518: 7E684134
	v_exp_f32_e32 v53, v53                                     // 00000000551C: 7E6A4135
	buffer_load_dwordx4 a[60:63], v43, s[12:15], 0 offen       // 000000005520: E05C1000 80833C2B
	s_add_u32 s12, s78, s12                                    // 000000005528: 800C0C4E
	s_addc_u32 s13, 0, s13                                     // 00000000552C: 820D0D80
	v_add_f32_e64 v50, v50, 1.0                                // 000000005530: D1010032 0001E532
	v_add_f32_e64 v51, v51, 1.0                                // 000000005538: D1010033 0001E533
	v_add_f32_e64 v52, v52, 1.0                                // 000000005540: D1010034 0001E534
	v_add_f32_e64 v53, v53, 1.0                                // 000000005548: D1010035 0001E535
	v_rcp_f32_e32 v50, v50                                     // 000000005550: 7E644532
	v_rcp_f32_e32 v51, v51                                     // 000000005554: 7E664533
	v_rcp_f32_e32 v52, v52                                     // 000000005558: 7E684534
	v_rcp_f32_e32 v53, v53                                     // 00000000555C: 7E6A4535
	v_mul_f32_e32 v156, v156, v50                              // 000000005560: 0B38659C
	v_mul_f32_e32 v157, v157, v51                              // 000000005564: 0B3A679D
	v_mul_f32_e32 v158, v158, v52                              // 000000005568: 0B3C699E
	v_mul_f32_e32 v159, v159, v53                              // 00000000556C: 0B3E6B9F
	v_mul_f32_e32 v156, v156, v92                              // 000000005570: 0B38B99C
	v_mul_f32_e32 v157, v157, v93                              // 000000005574: 0B3ABB9D
	v_mul_f32_e32 v158, v158, v94                              // 000000005578: 0B3CBD9E
	v_mul_f32_e32 v159, v159, v95                              // 00000000557C: 0B3EBF9F
	s_waitcnt vmcnt(20)                                        // 000000005580: BF8C4F74
	buffer_load_dwordx4 a[64:67], v40, s[12:15], 0 offen       // 000000005584: E05C1000 80834028
	v_mul_f32_e64 v50, -v160, s6                               // 00000000558C: D1050032 20000DA0
	v_mul_f32_e64 v51, -v161, s6                               // 000000005594: D1050033 20000DA1
	v_mul_f32_e64 v52, -v162, s6                               // 00000000559C: D1050034 20000DA2
	v_mul_f32_e64 v53, -v163, s6                               // 0000000055A4: D1050035 20000DA3
	v_exp_f32_e32 v50, v50                                     // 0000000055AC: 7E644132
	v_exp_f32_e32 v51, v51                                     // 0000000055B0: 7E664133
	v_exp_f32_e32 v52, v52                                     // 0000000055B4: 7E684134
	v_exp_f32_e32 v53, v53                                     // 0000000055B8: 7E6A4135
	buffer_load_dwordx4 a[68:71], v41, s[12:15], 0 offen       // 0000000055BC: E05C1000 80834429
	v_add_f32_e64 v50, v50, 1.0                                // 0000000055C4: D1010032 0001E532
	v_add_f32_e64 v51, v51, 1.0                                // 0000000055CC: D1010033 0001E533
	v_add_f32_e64 v52, v52, 1.0                                // 0000000055D4: D1010034 0001E534
	v_add_f32_e64 v53, v53, 1.0                                // 0000000055DC: D1010035 0001E535
	v_rcp_f32_e32 v50, v50                                     // 0000000055E4: 7E644532
	v_rcp_f32_e32 v51, v51                                     // 0000000055E8: 7E664533
	v_rcp_f32_e32 v52, v52                                     // 0000000055EC: 7E684534
	v_rcp_f32_e32 v53, v53                                     // 0000000055F0: 7E6A4535
	v_mul_f32_e32 v160, v160, v50                              // 0000000055F4: 0B4065A0
	v_mul_f32_e32 v161, v161, v51                              // 0000000055F8: 0B4267A1
	v_mul_f32_e32 v162, v162, v52                              // 0000000055FC: 0B4469A2
	v_mul_f32_e32 v163, v163, v53                              // 000000005600: 0B466BA3
	v_mul_f32_e32 v160, v160, v96                              // 000000005604: 0B40C1A0
	v_mul_f32_e32 v161, v161, v97                              // 000000005608: 0B42C3A1
	v_mul_f32_e32 v162, v162, v98                              // 00000000560C: 0B44C5A2
	v_mul_f32_e32 v163, v163, v99                              // 000000005610: 0B46C7A3
	buffer_load_dwordx4 a[72:75], v42, s[12:15], 0 offen       // 000000005614: E05C1000 8083482A
	v_mul_f32_e64 v50, -v164, s6                               // 00000000561C: D1050032 20000DA4
	v_mul_f32_e64 v51, -v165, s6                               // 000000005624: D1050033 20000DA5
	v_mul_f32_e64 v52, -v166, s6                               // 00000000562C: D1050034 20000DA6
	v_mul_f32_e64 v53, -v167, s6                               // 000000005634: D1050035 20000DA7
	v_exp_f32_e32 v50, v50                                     // 00000000563C: 7E644132
	v_exp_f32_e32 v51, v51                                     // 000000005640: 7E664133
	v_exp_f32_e32 v52, v52                                     // 000000005644: 7E684134
	v_exp_f32_e32 v53, v53                                     // 000000005648: 7E6A4135
	buffer_load_dwordx4 a[76:79], v43, s[12:15], 0 offen       // 00000000564C: E05C1000 80834C2B
	s_add_u32 s12, s78, s12                                    // 000000005654: 800C0C4E
	s_addc_u32 s13, 0, s13                                     // 000000005658: 820D0D80
	v_add_f32_e64 v50, v50, 1.0                                // 00000000565C: D1010032 0001E532
	v_add_f32_e64 v51, v51, 1.0                                // 000000005664: D1010033 0001E533
	v_add_f32_e64 v52, v52, 1.0                                // 00000000566C: D1010034 0001E534
	v_add_f32_e64 v53, v53, 1.0                                // 000000005674: D1010035 0001E535
	v_rcp_f32_e32 v50, v50                                     // 00000000567C: 7E644532
	v_rcp_f32_e32 v51, v51                                     // 000000005680: 7E664533
	v_rcp_f32_e32 v52, v52                                     // 000000005684: 7E684534
	v_rcp_f32_e32 v53, v53                                     // 000000005688: 7E6A4535
	v_mul_f32_e32 v164, v164, v50                              // 00000000568C: 0B4865A4
	v_mul_f32_e32 v165, v165, v51                              // 000000005690: 0B4A67A5
	v_mul_f32_e32 v166, v166, v52                              // 000000005694: 0B4C69A6
	v_mul_f32_e32 v167, v167, v53                              // 000000005698: 0B4E6BA7
	v_mul_f32_e32 v164, v164, v100                             // 00000000569C: 0B48C9A4
	v_mul_f32_e32 v165, v165, v101                             // 0000000056A0: 0B4ACBA5
	v_mul_f32_e32 v166, v166, v102                             // 0000000056A4: 0B4CCDA6
	v_mul_f32_e32 v167, v167, v103                             // 0000000056A8: 0B4ECFA7
	s_waitcnt vmcnt(20)                                        // 0000000056AC: BF8C4F74
	buffer_load_dwordx4 a[80:83], v40, s[12:15], 0 offen       // 0000000056B0: E05C1000 80835028
	v_mul_f32_e64 v50, -v168, s6                               // 0000000056B8: D1050032 20000DA8
	v_mul_f32_e64 v51, -v169, s6                               // 0000000056C0: D1050033 20000DA9
	v_mul_f32_e64 v52, -v170, s6                               // 0000000056C8: D1050034 20000DAA
	v_mul_f32_e64 v53, -v171, s6                               // 0000000056D0: D1050035 20000DAB
	v_exp_f32_e32 v50, v50                                     // 0000000056D8: 7E644132
	v_exp_f32_e32 v51, v51                                     // 0000000056DC: 7E664133
	v_exp_f32_e32 v52, v52                                     // 0000000056E0: 7E684134
	v_exp_f32_e32 v53, v53                                     // 0000000056E4: 7E6A4135
	buffer_load_dwordx4 a[84:87], v41, s[12:15], 0 offen       // 0000000056E8: E05C1000 80835429
	v_add_f32_e64 v50, v50, 1.0                                // 0000000056F0: D1010032 0001E532
	v_add_f32_e64 v51, v51, 1.0                                // 0000000056F8: D1010033 0001E533
	v_add_f32_e64 v52, v52, 1.0                                // 000000005700: D1010034 0001E534
	v_add_f32_e64 v53, v53, 1.0                                // 000000005708: D1010035 0001E535
	v_rcp_f32_e32 v50, v50                                     // 000000005710: 7E644532
	v_rcp_f32_e32 v51, v51                                     // 000000005714: 7E664533
	v_rcp_f32_e32 v52, v52                                     // 000000005718: 7E684534
	v_rcp_f32_e32 v53, v53                                     // 00000000571C: 7E6A4535
	v_mul_f32_e32 v168, v168, v50                              // 000000005720: 0B5065A8
	v_mul_f32_e32 v169, v169, v51                              // 000000005724: 0B5267A9
	v_mul_f32_e32 v170, v170, v52                              // 000000005728: 0B5469AA
	v_mul_f32_e32 v171, v171, v53                              // 00000000572C: 0B566BAB
	v_mul_f32_e32 v168, v168, v104                             // 000000005730: 0B50D1A8
	v_mul_f32_e32 v169, v169, v105                             // 000000005734: 0B52D3A9
	v_mul_f32_e32 v170, v170, v106                             // 000000005738: 0B54D5AA
	v_mul_f32_e32 v171, v171, v107                             // 00000000573C: 0B56D7AB
	buffer_load_dwordx4 a[88:91], v42, s[12:15], 0 offen       // 000000005740: E05C1000 8083582A
	v_mul_f32_e64 v50, -v172, s6                               // 000000005748: D1050032 20000DAC
	v_mul_f32_e64 v51, -v173, s6                               // 000000005750: D1050033 20000DAD
	v_mul_f32_e64 v52, -v174, s6                               // 000000005758: D1050034 20000DAE
	v_mul_f32_e64 v53, -v175, s6                               // 000000005760: D1050035 20000DAF
	v_exp_f32_e32 v50, v50                                     // 000000005768: 7E644132
	v_exp_f32_e32 v51, v51                                     // 00000000576C: 7E664133
	v_exp_f32_e32 v52, v52                                     // 000000005770: 7E684134
	v_exp_f32_e32 v53, v53                                     // 000000005774: 7E6A4135
	buffer_load_dwordx4 a[92:95], v43, s[12:15], 0 offen       // 000000005778: E05C1000 80835C2B
	v_add_f32_e64 v50, v50, 1.0                                // 000000005780: D1010032 0001E532
	v_add_f32_e64 v51, v51, 1.0                                // 000000005788: D1010033 0001E533
	v_add_f32_e64 v52, v52, 1.0                                // 000000005790: D1010034 0001E534
	v_add_f32_e64 v53, v53, 1.0                                // 000000005798: D1010035 0001E535
	v_rcp_f32_e32 v50, v50                                     // 0000000057A0: 7E644532
	v_rcp_f32_e32 v51, v51                                     // 0000000057A4: 7E664533
	v_rcp_f32_e32 v52, v52                                     // 0000000057A8: 7E684534
	v_rcp_f32_e32 v53, v53                                     // 0000000057AC: 7E6A4535
	v_mul_f32_e32 v172, v172, v50                              // 0000000057B0: 0B5865AC
	v_mul_f32_e32 v173, v173, v51                              // 0000000057B4: 0B5A67AD
	v_mul_f32_e32 v174, v174, v52                              // 0000000057B8: 0B5C69AE
	v_mul_f32_e32 v175, v175, v53                              // 0000000057BC: 0B5E6BAF
	v_mul_f32_e32 v172, v172, v108                             // 0000000057C0: 0B58D9AC
	v_mul_f32_e32 v173, v173, v109                             // 0000000057C4: 0B5ADBAD
	v_mul_f32_e32 v174, v174, v110                             // 0000000057C8: 0B5CDDAE
	v_mul_f32_e32 v175, v175, v111                             // 0000000057CC: 0B5EDFAF
	v_lshlrev_b32_e32 v50, 2, v0                               // 0000000057D0: 24640082
	s_mul_i32 s60, s82, s71                                    // 0000000057D4: 923C4752
	v_add_u32_e64 v80, v50, s60                                // 0000000057D8: D1340050 00007932
	v_mov_b32_e32 v81, 0                                       // 0000000057E0: 7EA20280
	s_mul_i32 s60, s83, s71                                    // 0000000057E4: 923C4753
	v_add_u32_e64 v82, v50, s60                                // 0000000057E8: D1340052 00007932
	v_mov_b32_e32 v83, 0                                       // 0000000057F0: 7EA60280
	s_mul_i32 s60, s84, s71                                    // 0000000057F4: 923C4754
	v_add_u32_e64 v84, v50, s60                                // 0000000057F8: D1340054 00007932
	v_mov_b32_e32 v85, 0                                       // 000000005800: 7EAA0280
	s_mul_i32 s60, s85, s71                                    // 000000005804: 923C4755
	v_add_u32_e64 v86, v50, s60                                // 000000005808: D1340056 00007932
	v_mov_b32_e32 v87, 0                                       // 000000005810: 7EAE0280
	s_mul_i32 s60, s86, s71                                    // 000000005814: 923C4756
	v_add_u32_e64 v88, v50, s60                                // 000000005818: D1340058 00007932
	v_mov_b32_e32 v89, 0                                       // 000000005820: 7EB20280
	s_mul_i32 s60, s87, s71                                    // 000000005824: 923C4757
	v_add_u32_e64 v90, v50, s60                                // 000000005828: D134005A 00007932
	v_mov_b32_e32 v91, 0                                       // 000000005830: 7EB60280
	s_mul_i32 s60, s88, s71                                    // 000000005834: 923C4758
	v_add_u32_e64 v92, v50, s60                                // 000000005838: D134005C 00007932
	v_mov_b32_e32 v93, 0                                       // 000000005840: 7EBA0280
	s_mul_i32 s60, s89, s71                                    // 000000005844: 923C4759
	v_add_u32_e64 v94, v50, s60                                // 000000005848: D134005E 00007932
	v_mov_b32_e32 v95, 0                                       // 000000005850: 7EBE0280
	buffer_load_dword v12, v5, s[16:19], 0 offen               // 000000005854: E0501000 80040C05
	v_mov_b32_e32 v22, 0x358637bd                              // 00000000585C: 7E2C02FF 358637BD
	v_mov_b32_e32 v23, 0x358637bd                              // 000000005864: 7E2E02FF 358637BD
	v_max3_f32 v22, |v128|, |v129|, v22                        // 00000000586C: D1D30316 045B0380
	v_max3_f32 v22, |v130|, |v131|, v22                        // 000000005874: D1D30316 045B0782
	v_max3_f32 v23, |v132|, |v133|, v23                        // 00000000587C: D1D30317 045F0B84
	v_max3_f32 v23, |v134|, |v135|, v23                        // 000000005884: D1D30317 045F0F86
	v_max3_f32 v22, |v136|, |v137|, v22                        // 00000000588C: D1D30316 045B1388
	v_max3_f32 v22, |v138|, |v139|, v22                        // 000000005894: D1D30316 045B178A
	v_max3_f32 v23, |v140|, |v141|, v23                        // 00000000589C: D1D30317 045F1B8C
	v_max3_f32 v23, |v142|, |v143|, v23                        // 0000000058A4: D1D30317 045F1F8E
	v_max3_f32 v22, |v144|, |v145|, v22                        // 0000000058AC: D1D30316 045B2390
	v_max3_f32 v22, |v146|, |v147|, v22                        // 0000000058B4: D1D30316 045B2792
	v_max3_f32 v23, |v148|, |v149|, v23                        // 0000000058BC: D1D30317 045F2B94
	v_max3_f32 v23, |v150|, |v151|, v23                        // 0000000058C4: D1D30317 045F2F96
	v_max3_f32 v22, |v152|, |v153|, v22                        // 0000000058CC: D1D30316 045B3398
	v_max3_f32 v22, |v154|, |v155|, v22                        // 0000000058D4: D1D30316 045B379A
	v_max3_f32 v23, |v156|, |v157|, v23                        // 0000000058DC: D1D30317 045F3B9C
	v_max3_f32 v23, |v158|, |v159|, v23                        // 0000000058E4: D1D30317 045F3F9E
	v_max3_f32 v22, |v160|, |v161|, v22                        // 0000000058EC: D1D30316 045B43A0
	v_max3_f32 v22, |v162|, |v163|, v22                        // 0000000058F4: D1D30316 045B47A2
	v_max3_f32 v23, |v164|, |v165|, v23                        // 0000000058FC: D1D30317 045F4BA4
	v_max3_f32 v23, |v166|, |v167|, v23                        // 000000005904: D1D30317 045F4FA6
	v_max3_f32 v22, |v168|, |v169|, v22                        // 00000000590C: D1D30316 045B53A8
	v_max3_f32 v22, |v170|, |v171|, v22                        // 000000005914: D1D30316 045B57AA
	v_max3_f32 v23, |v172|, |v173|, v23                        // 00000000591C: D1D30317 045F5BAC
	v_max3_f32 v23, |v174|, |v175|, v23                        // 000000005924: D1D30317 045F5FAE
	v_lshlrev_b32_e32 v50, 3, v0                               // 00000000592C: 24640083
	s_mul_i32 s60, 0x200, s7                                   // 000000005930: 923C07FF 00000200
	v_add_u32_e32 v50, s60, v50                                // 000000005938: 6864643C
	ds_write_b64 v50, v[22:23] offset:16640                    // 00000000593C: D89A4100 00001632
	s_waitcnt lgkmcnt(0)                                       // 000000005944: BF8CC07F
	s_barrier                                                  // 000000005948: BF8A0000
	v_and_b32_e32 v50, 15, v0                                  // 00000000594C: 2664008F
	v_lshlrev_b32_e32 v50, 3, v50                              // 000000005950: 24646483
	ds_read_b64 v[96:97], v50 offset:16640                     // 000000005954: D8EC4100 60000032
	ds_read_b64 v[98:99], v50 offset:16768                     // 00000000595C: D8EC4180 62000032
	ds_read_b64 v[100:101], v50 offset:16896                   // 000000005964: D8EC4200 64000032
	ds_read_b64 v[102:103], v50 offset:17024                   // 00000000596C: D8EC4280 66000032
	ds_read_b64 v[104:105], v50 offset:17152                   // 000000005974: D8EC4300 68000032
	ds_read_b64 v[106:107], v50 offset:17280                   // 00000000597C: D8EC4380 6A000032
	ds_read_b64 v[108:109], v50 offset:17408                   // 000000005984: D8EC4400 6C000032
	ds_read_b64 v[110:111], v50 offset:17536                   // 00000000598C: D8EC4480 6E000032
	ds_read_b64 v[112:113], v50 offset:17664                   // 000000005994: D8EC4500 70000032
	ds_read_b64 v[114:115], v50 offset:17792                   // 00000000599C: D8EC4580 72000032
	ds_read_b64 v[116:117], v50 offset:17920                   // 0000000059A4: D8EC4600 74000032
	ds_read_b64 v[118:119], v50 offset:18048                   // 0000000059AC: D8EC4680 76000032
	ds_read_b64 v[120:121], v50 offset:18176                   // 0000000059B4: D8EC4700 78000032
	ds_read_b64 v[122:123], v50 offset:18304                   // 0000000059BC: D8EC4780 7A000032
	ds_read_b64 v[124:125], v50 offset:18432                   // 0000000059C4: D8EC4800 7C000032
	ds_read_b64 v[126:127], v50 offset:18560                   // 0000000059CC: D8EC4880 7E000032
	s_waitcnt lgkmcnt(0)                                       // 0000000059D4: BF8CC07F
	v_max3_f32 v22, |v96|, |v98|, v22                          // 0000000059D8: D1D30316 045AC560
	v_max3_f32 v23, |v97|, |v99|, v23                          // 0000000059E0: D1D30317 045EC761
	v_max3_f32 v22, |v100|, |v102|, v22                        // 0000000059E8: D1D30316 045ACD64
	v_max3_f32 v23, |v101|, |v103|, v23                        // 0000000059F0: D1D30317 045ECF65
	v_max3_f32 v22, |v104|, |v106|, v22                        // 0000000059F8: D1D30316 045AD568
	v_max3_f32 v23, |v105|, |v107|, v23                        // 000000005A00: D1D30317 045ED769
	v_max3_f32 v22, |v108|, |v110|, v22                        // 000000005A08: D1D30316 045ADD6C
	v_max3_f32 v23, |v109|, |v111|, v23                        // 000000005A10: D1D30317 045EDF6D
	v_max3_f32 v22, |v112|, |v114|, v22                        // 000000005A18: D1D30316 045AE570
	v_max3_f32 v23, |v113|, |v115|, v23                        // 000000005A20: D1D30317 045EE771
	v_max3_f32 v22, |v116|, |v118|, v22                        // 000000005A28: D1D30316 045AED74
	v_max3_f32 v23, |v117|, |v119|, v23                        // 000000005A30: D1D30317 045EEF75
	v_max3_f32 v22, |v120|, |v122|, v22                        // 000000005A38: D1D30316 045AF578
	v_max3_f32 v23, |v121|, |v123|, v23                        // 000000005A40: D1D30317 045EF779
	v_max3_f32 v22, |v124|, |v126|, v22                        // 000000005A48: D1D30316 045AFD7C
	v_max3_f32 v23, |v125|, |v127|, v23                        // 000000005A50: D1D30317 045EFF7D
	v_rcp_f32_e32 v22, v22                                     // 000000005A58: 7E2C4516
	v_rcp_f32_e32 v23, v23                                     // 000000005A5C: 7E2E4517
	v_mov_b32_e32 v50, 0x43700000                              // 000000005A60: 7E6402FF 43700000
	v_mul_f32_e32 v22, v50, v22                                // 000000005A68: 0A2C2D32
	v_mul_f32_e32 v23, v50, v23                                // 000000005A6C: 0A2E2F32
	v_mul_f32_e32 v128, v22, v128                              // 000000005A70: 0B010116
	v_mul_f32_e32 v129, v22, v129                              // 000000005A74: 0B030316
	v_mul_f32_e32 v130, v22, v130                              // 000000005A78: 0B050516
	v_mul_f32_e32 v131, v22, v131                              // 000000005A7C: 0B070716
	v_cvt_pk_fp8_f32 v128, v128, v129                          // 000000005A80: D2A20080 00030380
	v_cvt_pk_fp8_f32 v128, v130, v131 op_sel:[0,0,1]           // 000000005A88: D2A24080 00030782
	v_mul_f32_e32 v132, v23, v132                              // 000000005A90: 0B090917
	v_mul_f32_e32 v133, v23, v133                              // 000000005A94: 0B0B0B17
	v_mul_f32_e32 v134, v23, v134                              // 000000005A98: 0B0D0D17
	v_mul_f32_e32 v135, v23, v135                              // 000000005A9C: 0B0F0F17
	v_cvt_pk_fp8_f32 v129, v132, v133                          // 000000005AA0: D2A20081 00030B84
	v_cvt_pk_fp8_f32 v129, v134, v135 op_sel:[0,0,1]           // 000000005AA8: D2A24081 00030F86
	v_mul_f32_e32 v136, v22, v136                              // 000000005AB0: 0B111116
	v_mul_f32_e32 v137, v22, v137                              // 000000005AB4: 0B131316
	v_mul_f32_e32 v138, v22, v138                              // 000000005AB8: 0B151516
	v_mul_f32_e32 v139, v22, v139                              // 000000005ABC: 0B171716
	v_cvt_pk_fp8_f32 v130, v136, v137                          // 000000005AC0: D2A20082 00031388
	v_cvt_pk_fp8_f32 v130, v138, v139 op_sel:[0,0,1]           // 000000005AC8: D2A24082 0003178A
	v_mul_f32_e32 v140, v23, v140                              // 000000005AD0: 0B191917
	v_mul_f32_e32 v141, v23, v141                              // 000000005AD4: 0B1B1B17
	v_mul_f32_e32 v142, v23, v142                              // 000000005AD8: 0B1D1D17
	v_mul_f32_e32 v143, v23, v143                              // 000000005ADC: 0B1F1F17
	v_cvt_pk_fp8_f32 v131, v140, v141                          // 000000005AE0: D2A20083 00031B8C
	v_cvt_pk_fp8_f32 v131, v142, v143 op_sel:[0,0,1]           // 000000005AE8: D2A24083 00031F8E
	v_mul_f32_e32 v144, v22, v144                              // 000000005AF0: 0B212116
	v_mul_f32_e32 v145, v22, v145                              // 000000005AF4: 0B232316
	v_mul_f32_e32 v146, v22, v146                              // 000000005AF8: 0B252516
	v_mul_f32_e32 v147, v22, v147                              // 000000005AFC: 0B272716
	v_cvt_pk_fp8_f32 v132, v144, v145                          // 000000005B00: D2A20084 00032390
	v_cvt_pk_fp8_f32 v132, v146, v147 op_sel:[0,0,1]           // 000000005B08: D2A24084 00032792
	v_mul_f32_e32 v148, v23, v148                              // 000000005B10: 0B292917
	v_mul_f32_e32 v149, v23, v149                              // 000000005B14: 0B2B2B17
	v_mul_f32_e32 v150, v23, v150                              // 000000005B18: 0B2D2D17
	v_mul_f32_e32 v151, v23, v151                              // 000000005B1C: 0B2F2F17
	v_cvt_pk_fp8_f32 v133, v148, v149                          // 000000005B20: D2A20085 00032B94
	v_cvt_pk_fp8_f32 v133, v150, v151 op_sel:[0,0,1]           // 000000005B28: D2A24085 00032F96
	v_mul_f32_e32 v152, v22, v152                              // 000000005B30: 0B313116
	v_mul_f32_e32 v153, v22, v153                              // 000000005B34: 0B333316
	v_mul_f32_e32 v154, v22, v154                              // 000000005B38: 0B353516
	v_mul_f32_e32 v155, v22, v155                              // 000000005B3C: 0B373716
	v_cvt_pk_fp8_f32 v134, v152, v153                          // 000000005B40: D2A20086 00033398
	v_cvt_pk_fp8_f32 v134, v154, v155 op_sel:[0,0,1]           // 000000005B48: D2A24086 0003379A
	v_mul_f32_e32 v156, v23, v156                              // 000000005B50: 0B393917
	v_mul_f32_e32 v157, v23, v157                              // 000000005B54: 0B3B3B17
	v_mul_f32_e32 v158, v23, v158                              // 000000005B58: 0B3D3D17
	v_mul_f32_e32 v159, v23, v159                              // 000000005B5C: 0B3F3F17
	v_cvt_pk_fp8_f32 v135, v156, v157                          // 000000005B60: D2A20087 00033B9C
	v_cvt_pk_fp8_f32 v135, v158, v159 op_sel:[0,0,1]           // 000000005B68: D2A24087 00033F9E
	v_mul_f32_e32 v160, v22, v160                              // 000000005B70: 0B414116
	v_mul_f32_e32 v161, v22, v161                              // 000000005B74: 0B434316
	v_mul_f32_e32 v162, v22, v162                              // 000000005B78: 0B454516
	v_mul_f32_e32 v163, v22, v163                              // 000000005B7C: 0B474716
	v_cvt_pk_fp8_f32 v136, v160, v161                          // 000000005B80: D2A20088 000343A0
	v_cvt_pk_fp8_f32 v136, v162, v163 op_sel:[0,0,1]           // 000000005B88: D2A24088 000347A2
	v_mul_f32_e32 v164, v23, v164                              // 000000005B90: 0B494917
	v_mul_f32_e32 v165, v23, v165                              // 000000005B94: 0B4B4B17
	v_mul_f32_e32 v166, v23, v166                              // 000000005B98: 0B4D4D17
	v_mul_f32_e32 v167, v23, v167                              // 000000005B9C: 0B4F4F17
	v_cvt_pk_fp8_f32 v137, v164, v165                          // 000000005BA0: D2A20089 00034BA4
	v_cvt_pk_fp8_f32 v137, v166, v167 op_sel:[0,0,1]           // 000000005BA8: D2A24089 00034FA6
	v_mul_f32_e32 v168, v22, v168                              // 000000005BB0: 0B515116
	v_mul_f32_e32 v169, v22, v169                              // 000000005BB4: 0B535316
	v_mul_f32_e32 v170, v22, v170                              // 000000005BB8: 0B555516
	v_mul_f32_e32 v171, v22, v171                              // 000000005BBC: 0B575716
	v_cvt_pk_fp8_f32 v138, v168, v169                          // 000000005BC0: D2A2008A 000353A8
	v_cvt_pk_fp8_f32 v138, v170, v171 op_sel:[0,0,1]           // 000000005BC8: D2A2408A 000357AA
	v_mul_f32_e32 v172, v23, v172                              // 000000005BD0: 0B595917
	v_mul_f32_e32 v173, v23, v173                              // 000000005BD4: 0B5B5B17
	v_mul_f32_e32 v174, v23, v174                              // 000000005BD8: 0B5D5D17
	v_mul_f32_e32 v175, v23, v175                              // 000000005BDC: 0B5F5F17
	v_cvt_pk_fp8_f32 v139, v172, v173                          // 000000005BE0: D2A2008B 00035BAC
	v_cvt_pk_fp8_f32 v139, v174, v175 op_sel:[0,0,1]           // 000000005BE8: D2A2408B 00035FAE
	v_rcp_f32_e32 v24, v22                                     // 000000005BF0: 7E304516
	v_rcp_f32_e32 v25, v23                                     // 000000005BF4: 7E324517
	v_lshrrev_b32_e32 v50, 5, v0                               // 000000005BF8: 20640085
	v_lshlrev_b32_e32 v51, 5, v50                              // 000000005BFC: 24666485
	v_and_b32_e32 v50, 31, v0                                  // 000000005C00: 2664009F
	v_lshrrev_b32_e32 v52, 4, v50                              // 000000005C04: 20686484
	v_add_u32_e32 v51, v52, v51                                // 000000005C08: 68666734
	v_and_b32_e32 v50, 15, v0                                  // 000000005C0C: 2664008F
	v_lshlrev_b32_e32 v50, 1, v50                              // 000000005C10: 24646481
	v_add_u32_e32 v51, v50, v51                                // 000000005C14: 68666732
	v_lshlrev_b32_e32 v50, 2, v51                              // 000000005C18: 24646682
	s_mul_i32 s60, 0x100, s7                                   // 000000005C1C: 923C07FF 00000100
	v_add_u32_e64 v50, v50, s60                                // 000000005C24: D1340032 00007932
	ds_write_b32 v50, v128 offset:18688                        // 000000005C2C: D81A4900 00008032
	ds_write_b32 v50, v129 offset:24832                        // 000000005C34: D81A6100 00008132
	ds_write_b32 v50, v130 offset:19712                        // 000000005C3C: D81A4D00 00008232
	ds_write_b32 v50, v131 offset:25856                        // 000000005C44: D81A6500 00008332
	ds_write_b32 v50, v132 offset:20736                        // 000000005C4C: D81A5100 00008432
	ds_write_b32 v50, v133 offset:26880                        // 000000005C54: D81A6900 00008532
	ds_write_b32 v50, v134 offset:21760                        // 000000005C5C: D81A5500 00008632
	ds_write_b32 v50, v135 offset:27904                        // 000000005C64: D81A6D00 00008732
	ds_write_b32 v50, v136 offset:22784                        // 000000005C6C: D81A5900 00008832
	ds_write_b32 v50, v137 offset:28928                        // 000000005C74: D81A7100 00008932
	ds_write_b32 v50, v138 offset:23808                        // 000000005C7C: D81A5D00 00008A32
	ds_write_b32 v50, v139 offset:29952                        // 000000005C84: D81A7500 00008B32
	s_waitcnt lgkmcnt(0)                                       // 000000005C8C: BF8CC07F
	s_barrier                                                  // 000000005C90: BF8A0000
	v_lshrrev_b32_e32 v50, 4, v0                               // 000000005C94: 20640084
	v_lshlrev_b32_e32 v51, 6, v50                              // 000000005C98: 24666486
	v_and_b32_e32 v50, 15, v0                                  // 000000005C9C: 2664008F
	v_lshlrev_b32_e32 v50, 1, v50                              // 000000005CA0: 24646481
	v_add_u32_e32 v51, v50, v51                                // 000000005CA4: 68666732
	v_lshlrev_b32_e32 v50, 2, v51                              // 000000005CA8: 24646682
	ds_read_b64 v[128:129], v50 offset:18688                   // 000000005CAC: D8EC4900 80000032
	ds_read_b64 v[130:131], v50 offset:18816                   // 000000005CB4: D8EC4980 82000032
	ds_read_b64 v[132:133], v50 offset:19712                   // 000000005CBC: D8EC4D00 84000032
	ds_read_b64 v[134:135], v50 offset:19840                   // 000000005CC4: D8EC4D80 86000032
	ds_read_b64 v[136:137], v50 offset:20736                   // 000000005CCC: D8EC5100 88000032
	ds_read_b64 v[138:139], v50 offset:20864                   // 000000005CD4: D8EC5180 8A000032
	ds_read_b64 v[140:141], v50 offset:21760                   // 000000005CDC: D8EC5500 8C000032
	ds_read_b64 v[142:143], v50 offset:21888                   // 000000005CE4: D8EC5580 8E000032
	ds_read_b64 v[144:145], v50 offset:22784                   // 000000005CEC: D8EC5900 90000032
	ds_read_b64 v[146:147], v50 offset:22912                   // 000000005CF4: D8EC5980 92000032
	ds_read_b64 v[148:149], v50 offset:23808                   // 000000005CFC: D8EC5D00 94000032
	ds_read_b64 v[150:151], v50 offset:23936                   // 000000005D04: D8EC5D80 96000032
	ds_read_b64 v[152:153], v50 offset:24832                   // 000000005D0C: D8EC6100 98000032
	ds_read_b64 v[154:155], v50 offset:24960                   // 000000005D14: D8EC6180 9A000032
	ds_read_b64 v[156:157], v50 offset:25856                   // 000000005D1C: D8EC6500 9C000032
	ds_read_b64 v[158:159], v50 offset:25984                   // 000000005D24: D8EC6580 9E000032
	ds_read_b64 v[160:161], v50 offset:26880                   // 000000005D2C: D8EC6900 A0000032
	ds_read_b64 v[162:163], v50 offset:27008                   // 000000005D34: D8EC6980 A2000032
	ds_read_b64 v[164:165], v50 offset:27904                   // 000000005D3C: D8EC6D00 A4000032
	ds_read_b64 v[166:167], v50 offset:28032                   // 000000005D44: D8EC6D80 A6000032
	ds_read_b64 v[168:169], v50 offset:28928                   // 000000005D4C: D8EC7100 A8000032
	ds_read_b64 v[170:171], v50 offset:29056                   // 000000005D54: D8EC7180 AA000032
	ds_read_b64 v[172:173], v50 offset:29952                   // 000000005D5C: D8EC7500 AC000032
	ds_read_b64 v[174:175], v50 offset:30080                   // 000000005D64: D8EC7580 AE000032
	s_add_u32 s12, s56, s12                                    // 000000005D6C: 800C0C38
	s_addc_u32 s13, 0, s13                                     // 000000005D70: 820D0D80
	s_add_u32 s16, s79, s16                                    // 000000005D74: 8010104F
	s_addc_u32 s17, 0, s17                                     // 000000005D78: 82111180
	s_mov_b32 s80, 0                                           // 000000005D7C: BED00080
	s_waitcnt vmcnt(0) expcnt(0) lgkmcnt(0)                    // 000000005D80: BF8C0000

0000000000005d84 <label_0BE1>:
	s_waitcnt vmcnt(37)                                        // 000000005D84: BF8C8F75
	s_barrier                                                  // 000000005D88: BF8A0000
	v_mfma_f32_16x16x32_fp8_fp8 v[176:179], a[0:1], v[128:129], 0// 000000005D8C: D3F300B0 0A030100
	v_mfma_f32_16x16x32_fp8_fp8 v[176:179], a[2:3], v[130:131], v[176:179]// 000000005D94: D3F300B0 0EC30502
	buffer_load_dwordx4 a[96:99], v40, s[12:15], 0 offen       // 000000005D9C: E05C1000 80836028
	v_mfma_f32_16x16x32_fp8_fp8 v[180:183], a[0:1], v[152:153], 0// 000000005DA4: D3F300B4 0A033100
	v_mfma_f32_16x16x32_fp8_fp8 v[180:183], a[2:3], v[154:155], v[180:183]// 000000005DAC: D3F300B4 0ED33502
	v_mfma_f32_16x16x32_fp8_fp8 v[184:187], a[4:5], v[128:129], 0// 000000005DB4: D3F300B8 0A030104
	v_mfma_f32_16x16x32_fp8_fp8 v[184:187], a[6:7], v[130:131], v[184:187]// 000000005DBC: D3F300B8 0EE30506
	buffer_load_dwordx4 a[100:103], v41, s[12:15], 0 offen     // 000000005DC4: E05C1000 80836429
	v_mfma_f32_16x16x32_fp8_fp8 v[188:191], a[4:5], v[152:153], 0// 000000005DCC: D3F300BC 0A033104
	v_mfma_f32_16x16x32_fp8_fp8 v[188:191], a[6:7], v[154:155], v[188:191]// 000000005DD4: D3F300BC 0EF33506
	v_mfma_f32_16x16x32_fp8_fp8 v[192:195], a[8:9], v[128:129], 0// 000000005DDC: D3F300C0 0A030108
	v_mfma_f32_16x16x32_fp8_fp8 v[192:195], a[10:11], v[130:131], v[192:195]// 000000005DE4: D3F300C0 0F03050A
	buffer_load_dwordx4 a[104:107], v42, s[12:15], 0 offen     // 000000005DEC: E05C1000 8083682A
	v_mfma_f32_16x16x32_fp8_fp8 v[196:199], a[8:9], v[152:153], 0// 000000005DF4: D3F300C4 0A033108
	v_mfma_f32_16x16x32_fp8_fp8 v[196:199], a[10:11], v[154:155], v[196:199]// 000000005DFC: D3F300C4 0F13350A
	v_mfma_f32_16x16x32_fp8_fp8 v[200:203], a[12:13], v[128:129], 0// 000000005E04: D3F300C8 0A03010C
	v_mfma_f32_16x16x32_fp8_fp8 v[200:203], a[14:15], v[130:131], v[200:203]// 000000005E0C: D3F300C8 0F23050E
	buffer_load_dwordx4 a[108:111], v43, s[12:15], 0 offen     // 000000005E14: E05C1000 80836C2B
	s_add_u32 s12, s78, s12                                    // 000000005E1C: 800C0C4E
	s_addc_u32 s13, 0, s13                                     // 000000005E20: 820D0D80
	v_mfma_f32_16x16x32_fp8_fp8 v[204:207], a[12:13], v[152:153], 0// 000000005E24: D3F300CC 0A03310C
	v_mfma_f32_16x16x32_fp8_fp8 v[204:207], a[14:15], v[154:155], v[204:207]// 000000005E2C: D3F300CC 0F33350E
	s_waitcnt vmcnt(37)                                        // 000000005E34: BF8C8F75
	v_mfma_f32_16x16x32_fp8_fp8 v[176:179], a[16:17], v[132:133], v[176:179]// 000000005E38: D3F300B0 0EC30910
	v_mfma_f32_16x16x32_fp8_fp8 v[176:179], a[18:19], v[134:135], v[176:179]// 000000005E40: D3F300B0 0EC30D12
	buffer_load_dwordx4 a[112:115], v40, s[12:15], 0 offen     // 000000005E48: E05C1000 80837028
	v_mfma_f32_16x16x32_fp8_fp8 v[180:183], a[16:17], v[156:157], v[180:183]// 000000005E50: D3F300B4 0ED33910
	v_mfma_f32_16x16x32_fp8_fp8 v[180:183], a[18:19], v[158:159], v[180:183]// 000000005E58: D3F300B4 0ED33D12
	v_mfma_f32_16x16x32_fp8_fp8 v[184:187], a[20:21], v[132:133], v[184:187]// 000000005E60: D3F300B8 0EE30914
	v_mfma_f32_16x16x32_fp8_fp8 v[184:187], a[22:23], v[134:135], v[184:187]// 000000005E68: D3F300B8 0EE30D16
	buffer_load_dwordx4 a[116:119], v41, s[12:15], 0 offen     // 000000005E70: E05C1000 80837429
	v_mfma_f32_16x16x32_fp8_fp8 v[188:191], a[20:21], v[156:157], v[188:191]// 000000005E78: D3F300BC 0EF33914
	v_mfma_f32_16x16x32_fp8_fp8 v[188:191], a[22:23], v[158:159], v[188:191]// 000000005E80: D3F300BC 0EF33D16
	v_mfma_f32_16x16x32_fp8_fp8 v[192:195], a[24:25], v[132:133], v[192:195]// 000000005E88: D3F300C0 0F030918
	v_mfma_f32_16x16x32_fp8_fp8 v[192:195], a[26:27], v[134:135], v[192:195]// 000000005E90: D3F300C0 0F030D1A
	buffer_load_dwordx4 a[120:123], v42, s[12:15], 0 offen     // 000000005E98: E05C1000 8083782A
	v_mfma_f32_16x16x32_fp8_fp8 v[196:199], a[24:25], v[156:157], v[196:199]// 000000005EA0: D3F300C4 0F133918
	v_mfma_f32_16x16x32_fp8_fp8 v[196:199], a[26:27], v[158:159], v[196:199]// 000000005EA8: D3F300C4 0F133D1A
	v_mfma_f32_16x16x32_fp8_fp8 v[200:203], a[28:29], v[132:133], v[200:203]// 000000005EB0: D3F300C8 0F23091C
	v_mfma_f32_16x16x32_fp8_fp8 v[200:203], a[30:31], v[134:135], v[200:203]// 000000005EB8: D3F300C8 0F230D1E
	buffer_load_dwordx4 a[124:127], v43, s[12:15], 0 offen     // 000000005EC0: E05C1000 80837C2B
	s_add_u32 s12, s78, s12                                    // 000000005EC8: 800C0C4E
	s_addc_u32 s13, 0, s13                                     // 000000005ECC: 820D0D80
	v_mfma_f32_16x16x32_fp8_fp8 v[204:207], a[28:29], v[156:157], v[204:207]// 000000005ED0: D3F300CC 0F33391C
	v_mfma_f32_16x16x32_fp8_fp8 v[204:207], a[30:31], v[158:159], v[204:207]// 000000005ED8: D3F300CC 0F333D1E
	s_waitcnt vmcnt(37)                                        // 000000005EE0: BF8C8F75
	v_mfma_f32_16x16x32_fp8_fp8 v[176:179], a[32:33], v[136:137], v[176:179]// 000000005EE4: D3F300B0 0EC31120
	v_mfma_f32_16x16x32_fp8_fp8 v[176:179], a[34:35], v[138:139], v[176:179]// 000000005EEC: D3F300B0 0EC31522
	buffer_load_dwordx4 a[128:131], v40, s[12:15], 0 offen     // 000000005EF4: E05C1000 80838028
	v_mfma_f32_16x16x32_fp8_fp8 v[180:183], a[32:33], v[160:161], v[180:183]// 000000005EFC: D3F300B4 0ED34120
	v_mfma_f32_16x16x32_fp8_fp8 v[180:183], a[34:35], v[162:163], v[180:183]// 000000005F04: D3F300B4 0ED34522
	v_mfma_f32_16x16x32_fp8_fp8 v[184:187], a[36:37], v[136:137], v[184:187]// 000000005F0C: D3F300B8 0EE31124
	v_mfma_f32_16x16x32_fp8_fp8 v[184:187], a[38:39], v[138:139], v[184:187]// 000000005F14: D3F300B8 0EE31526
	buffer_load_dwordx4 a[132:135], v41, s[12:15], 0 offen     // 000000005F1C: E05C1000 80838429
	v_mfma_f32_16x16x32_fp8_fp8 v[188:191], a[36:37], v[160:161], v[188:191]// 000000005F24: D3F300BC 0EF34124
	v_mfma_f32_16x16x32_fp8_fp8 v[188:191], a[38:39], v[162:163], v[188:191]// 000000005F2C: D3F300BC 0EF34526
	v_mfma_f32_16x16x32_fp8_fp8 v[192:195], a[40:41], v[136:137], v[192:195]// 000000005F34: D3F300C0 0F031128
	v_mfma_f32_16x16x32_fp8_fp8 v[192:195], a[42:43], v[138:139], v[192:195]// 000000005F3C: D3F300C0 0F03152A
	buffer_load_dwordx4 a[136:139], v42, s[12:15], 0 offen     // 000000005F44: E05C1000 8083882A
	v_mfma_f32_16x16x32_fp8_fp8 v[196:199], a[40:41], v[160:161], v[196:199]// 000000005F4C: D3F300C4 0F134128
	v_mfma_f32_16x16x32_fp8_fp8 v[196:199], a[42:43], v[162:163], v[196:199]// 000000005F54: D3F300C4 0F13452A
	v_mfma_f32_16x16x32_fp8_fp8 v[200:203], a[44:45], v[136:137], v[200:203]// 000000005F5C: D3F300C8 0F23112C
	v_mfma_f32_16x16x32_fp8_fp8 v[200:203], a[46:47], v[138:139], v[200:203]// 000000005F64: D3F300C8 0F23152E
	buffer_load_dwordx4 a[140:143], v43, s[12:15], 0 offen     // 000000005F6C: E05C1000 80838C2B
	s_add_u32 s12, s78, s12                                    // 000000005F74: 800C0C4E
	s_addc_u32 s13, 0, s13                                     // 000000005F78: 820D0D80
	v_mfma_f32_16x16x32_fp8_fp8 v[204:207], a[44:45], v[160:161], v[204:207]// 000000005F7C: D3F300CC 0F33412C
	v_mfma_f32_16x16x32_fp8_fp8 v[204:207], a[46:47], v[162:163], v[204:207]// 000000005F84: D3F300CC 0F33452E
	s_waitcnt vmcnt(37)                                        // 000000005F8C: BF8C8F75
	v_mfma_f32_16x16x32_fp8_fp8 v[176:179], a[48:49], v[140:141], v[176:179]// 000000005F90: D3F300B0 0EC31930
	v_mfma_f32_16x16x32_fp8_fp8 v[176:179], a[50:51], v[142:143], v[176:179]// 000000005F98: D3F300B0 0EC31D32
	buffer_load_dwordx4 a[144:147], v40, s[12:15], 0 offen     // 000000005FA0: E05C1000 80839028
	v_mfma_f32_16x16x32_fp8_fp8 v[180:183], a[48:49], v[164:165], v[180:183]// 000000005FA8: D3F300B4 0ED34930
	v_mfma_f32_16x16x32_fp8_fp8 v[180:183], a[50:51], v[166:167], v[180:183]// 000000005FB0: D3F300B4 0ED34D32
	v_mfma_f32_16x16x32_fp8_fp8 v[184:187], a[52:53], v[140:141], v[184:187]// 000000005FB8: D3F300B8 0EE31934
	v_mfma_f32_16x16x32_fp8_fp8 v[184:187], a[54:55], v[142:143], v[184:187]// 000000005FC0: D3F300B8 0EE31D36
	buffer_load_dwordx4 a[148:151], v41, s[12:15], 0 offen     // 000000005FC8: E05C1000 80839429
	v_mfma_f32_16x16x32_fp8_fp8 v[188:191], a[52:53], v[164:165], v[188:191]// 000000005FD0: D3F300BC 0EF34934
	v_mfma_f32_16x16x32_fp8_fp8 v[188:191], a[54:55], v[166:167], v[188:191]// 000000005FD8: D3F300BC 0EF34D36
	v_mfma_f32_16x16x32_fp8_fp8 v[192:195], a[56:57], v[140:141], v[192:195]// 000000005FE0: D3F300C0 0F031938
	v_mfma_f32_16x16x32_fp8_fp8 v[192:195], a[58:59], v[142:143], v[192:195]// 000000005FE8: D3F300C0 0F031D3A
	buffer_load_dwordx4 a[152:155], v42, s[12:15], 0 offen     // 000000005FF0: E05C1000 8083982A
	v_mfma_f32_16x16x32_fp8_fp8 v[196:199], a[56:57], v[164:165], v[196:199]// 000000005FF8: D3F300C4 0F134938
	v_mfma_f32_16x16x32_fp8_fp8 v[196:199], a[58:59], v[166:167], v[196:199]// 000000006000: D3F300C4 0F134D3A
	v_mfma_f32_16x16x32_fp8_fp8 v[200:203], a[60:61], v[140:141], v[200:203]// 000000006008: D3F300C8 0F23193C
	v_mfma_f32_16x16x32_fp8_fp8 v[200:203], a[62:63], v[142:143], v[200:203]// 000000006010: D3F300C8 0F231D3E
	buffer_load_dwordx4 a[156:159], v43, s[12:15], 0 offen     // 000000006018: E05C1000 80839C2B
	s_add_u32 s12, s78, s12                                    // 000000006020: 800C0C4E
	s_addc_u32 s13, 0, s13                                     // 000000006024: 820D0D80
	v_mfma_f32_16x16x32_fp8_fp8 v[204:207], a[60:61], v[164:165], v[204:207]// 000000006028: D3F300CC 0F33493C
	v_mfma_f32_16x16x32_fp8_fp8 v[204:207], a[62:63], v[166:167], v[204:207]// 000000006030: D3F300CC 0F334D3E
	s_waitcnt vmcnt(37)                                        // 000000006038: BF8C8F75
	v_mfma_f32_16x16x32_fp8_fp8 v[176:179], a[64:65], v[144:145], v[176:179]// 00000000603C: D3F300B0 0EC32140
	v_mfma_f32_16x16x32_fp8_fp8 v[176:179], a[66:67], v[146:147], v[176:179]// 000000006044: D3F300B0 0EC32542
	buffer_load_dwordx4 a[160:163], v40, s[12:15], 0 offen     // 00000000604C: E05C1000 8083A028
	v_mfma_f32_16x16x32_fp8_fp8 v[180:183], a[64:65], v[168:169], v[180:183]// 000000006054: D3F300B4 0ED35140
	v_mfma_f32_16x16x32_fp8_fp8 v[180:183], a[66:67], v[170:171], v[180:183]// 00000000605C: D3F300B4 0ED35542
	v_mfma_f32_16x16x32_fp8_fp8 v[184:187], a[68:69], v[144:145], v[184:187]// 000000006064: D3F300B8 0EE32144
	v_mfma_f32_16x16x32_fp8_fp8 v[184:187], a[70:71], v[146:147], v[184:187]// 00000000606C: D3F300B8 0EE32546
	buffer_load_dwordx4 a[164:167], v41, s[12:15], 0 offen     // 000000006074: E05C1000 8083A429
	v_mfma_f32_16x16x32_fp8_fp8 v[188:191], a[68:69], v[168:169], v[188:191]// 00000000607C: D3F300BC 0EF35144
	v_mfma_f32_16x16x32_fp8_fp8 v[188:191], a[70:71], v[170:171], v[188:191]// 000000006084: D3F300BC 0EF35546
	v_mfma_f32_16x16x32_fp8_fp8 v[192:195], a[72:73], v[144:145], v[192:195]// 00000000608C: D3F300C0 0F032148
	v_mfma_f32_16x16x32_fp8_fp8 v[192:195], a[74:75], v[146:147], v[192:195]// 000000006094: D3F300C0 0F03254A
	buffer_load_dwordx4 a[168:171], v42, s[12:15], 0 offen     // 00000000609C: E05C1000 8083A82A
	v_mfma_f32_16x16x32_fp8_fp8 v[196:199], a[72:73], v[168:169], v[196:199]// 0000000060A4: D3F300C4 0F135148
	v_mfma_f32_16x16x32_fp8_fp8 v[196:199], a[74:75], v[170:171], v[196:199]// 0000000060AC: D3F300C4 0F13554A
	v_mfma_f32_16x16x32_fp8_fp8 v[200:203], a[76:77], v[144:145], v[200:203]// 0000000060B4: D3F300C8 0F23214C
	v_mfma_f32_16x16x32_fp8_fp8 v[200:203], a[78:79], v[146:147], v[200:203]// 0000000060BC: D3F300C8 0F23254E
	buffer_load_dwordx4 a[172:175], v43, s[12:15], 0 offen     // 0000000060C4: E05C1000 8083AC2B
	s_add_u32 s12, s78, s12                                    // 0000000060CC: 800C0C4E
	s_addc_u32 s13, 0, s13                                     // 0000000060D0: 820D0D80
	v_mfma_f32_16x16x32_fp8_fp8 v[204:207], a[76:77], v[168:169], v[204:207]// 0000000060D4: D3F300CC 0F33514C
	v_mfma_f32_16x16x32_fp8_fp8 v[204:207], a[78:79], v[170:171], v[204:207]// 0000000060DC: D3F300CC 0F33554E
	s_waitcnt vmcnt(36)                                        // 0000000060E4: BF8C8F74
	v_mfma_f32_16x16x32_fp8_fp8 v[176:179], a[80:81], v[148:149], v[176:179]// 0000000060E8: D3F300B0 0EC32950
	v_mfma_f32_16x16x32_fp8_fp8 v[176:179], a[82:83], v[150:151], v[176:179]// 0000000060F0: D3F300B0 0EC32D52
	buffer_load_dwordx4 a[176:179], v40, s[12:15], 0 offen     // 0000000060F8: E05C1000 8083B028
	v_mfma_f32_16x16x32_fp8_fp8 v[180:183], a[80:81], v[172:173], v[180:183]// 000000006100: D3F300B4 0ED35950
	v_mfma_f32_16x16x32_fp8_fp8 v[180:183], a[82:83], v[174:175], v[180:183]// 000000006108: D3F300B4 0ED35D52
	buffer_load_dword v13, v5, s[16:19], 0 offen               // 000000006110: E0501000 80040D05
	v_mfma_f32_16x16x32_fp8_fp8 v[184:187], a[84:85], v[148:149], v[184:187]// 000000006118: D3F300B8 0EE32954
	v_mfma_f32_16x16x32_fp8_fp8 v[184:187], a[86:87], v[150:151], v[184:187]// 000000006120: D3F300B8 0EE32D56
	buffer_load_dwordx4 a[180:183], v41, s[12:15], 0 offen     // 000000006128: E05C1000 8083B429
	v_mfma_f32_16x16x32_fp8_fp8 v[188:191], a[84:85], v[172:173], v[188:191]// 000000006130: D3F300BC 0EF35954
	v_mfma_f32_16x16x32_fp8_fp8 v[188:191], a[86:87], v[174:175], v[188:191]// 000000006138: D3F300BC 0EF35D56
	v_mfma_f32_16x16x32_fp8_fp8 v[192:195], a[88:89], v[148:149], v[192:195]// 000000006140: D3F300C0 0F032958
	v_mfma_f32_16x16x32_fp8_fp8 v[192:195], a[90:91], v[150:151], v[192:195]// 000000006148: D3F300C0 0F032D5A
	buffer_load_dwordx4 a[184:187], v42, s[12:15], 0 offen     // 000000006150: E05C1000 8083B82A
	v_mfma_f32_16x16x32_fp8_fp8 v[196:199], a[88:89], v[172:173], v[196:199]// 000000006158: D3F300C4 0F135958
	v_mfma_f32_16x16x32_fp8_fp8 v[196:199], a[90:91], v[174:175], v[196:199]// 000000006160: D3F300C4 0F135D5A
	v_mfma_f32_16x16x32_fp8_fp8 v[200:203], a[92:93], v[148:149], v[200:203]// 000000006168: D3F300C8 0F23295C
	v_mfma_f32_16x16x32_fp8_fp8 v[200:203], a[94:95], v[150:151], v[200:203]// 000000006170: D3F300C8 0F232D5E
	buffer_load_dwordx4 a[188:191], v43, s[12:15], 0 offen     // 000000006178: E05C1000 8083BC2B
	v_mfma_f32_16x16x32_fp8_fp8 v[204:207], a[92:93], v[172:173], v[204:207]// 000000006180: D3F300CC 0F33595C
	v_mfma_f32_16x16x32_fp8_fp8 v[204:207], a[94:95], v[174:175], v[204:207]// 000000006188: D3F300CC 0F335D5E
	s_add_u32 s60, 0x200, s80                                  // 000000006190: 803C50FF 00000200
	s_cmp_lt_u32 s60, s81                                      // 000000006198: BF0A513C
	s_cselect_b32 s56, s56, 0                                  // 00000000619C: 85388038
	s_cselect_b32 s78, s78, 0                                  // 0000000061A0: 854E804E
	s_cselect_b32 s79, s79, 0                                  // 0000000061A4: 854F804F
	s_add_u32 s12, s56, s12                                    // 0000000061A8: 800C0C38
	s_addc_u32 s13, 0, s13                                     // 0000000061AC: 820D0D80
	s_add_u32 s16, s79, s16                                    // 0000000061B0: 8010104F
	s_addc_u32 s17, 0, s17                                     // 0000000061B4: 82111180
	v_mul_f32_e32 v176, v24, v176                              // 0000000061B8: 0B616118
	v_mul_f32_e32 v177, v24, v177                              // 0000000061BC: 0B636318
	v_mul_f32_e32 v178, v24, v178                              // 0000000061C0: 0B656518
	v_mul_f32_e32 v179, v24, v179                              // 0000000061C4: 0B676718
	v_mul_f32_dpp v176, v12, v176 row_newbcast:0 row_mask:0xf bank_mask:0xf// 0000000061C8: 0B6160FA FF01500C
	v_mul_f32_dpp v177, v12, v177 row_newbcast:1 row_mask:0xf bank_mask:0xf// 0000000061D0: 0B6362FA FF01510C
	v_mul_f32_dpp v178, v12, v178 row_newbcast:2 row_mask:0xf bank_mask:0xf// 0000000061D8: 0B6564FA FF01520C
	v_mul_f32_dpp v179, v12, v179 row_newbcast:3 row_mask:0xf bank_mask:0xf// 0000000061E0: 0B6766FA FF01530C
	v_mul_f32_e32 v180, v25, v180                              // 0000000061E8: 0B696919
	v_mul_f32_e32 v181, v25, v181                              // 0000000061EC: 0B6B6B19
	v_mul_f32_e32 v182, v25, v182                              // 0000000061F0: 0B6D6D19
	v_mul_f32_e32 v183, v25, v183                              // 0000000061F4: 0B6F6F19
	v_mul_f32_dpp v180, v12, v180 row_newbcast:0 row_mask:0xf bank_mask:0xf// 0000000061F8: 0B6968FA FF01500C
	v_mul_f32_dpp v181, v12, v181 row_newbcast:1 row_mask:0xf bank_mask:0xf// 000000006200: 0B6B6AFA FF01510C
	v_mul_f32_dpp v182, v12, v182 row_newbcast:2 row_mask:0xf bank_mask:0xf// 000000006208: 0B6D6CFA FF01520C
	v_mul_f32_dpp v183, v12, v183 row_newbcast:3 row_mask:0xf bank_mask:0xf// 000000006210: 0B6F6EFA FF01530C
	v_mul_f32_e32 v184, v24, v184                              // 000000006218: 0B717118
	v_mul_f32_e32 v185, v24, v185                              // 00000000621C: 0B737318
	v_mul_f32_e32 v186, v24, v186                              // 000000006220: 0B757518
	v_mul_f32_e32 v187, v24, v187                              // 000000006224: 0B777718
	v_mul_f32_dpp v184, v12, v184 row_newbcast:4 row_mask:0xf bank_mask:0xf// 000000006228: 0B7170FA FF01540C
	v_mul_f32_dpp v185, v12, v185 row_newbcast:5 row_mask:0xf bank_mask:0xf// 000000006230: 0B7372FA FF01550C
	v_mul_f32_dpp v186, v12, v186 row_newbcast:6 row_mask:0xf bank_mask:0xf// 000000006238: 0B7574FA FF01560C
	v_mul_f32_dpp v187, v12, v187 row_newbcast:7 row_mask:0xf bank_mask:0xf// 000000006240: 0B7776FA FF01570C
	v_mul_f32_e32 v188, v25, v188                              // 000000006248: 0B797919
	v_mul_f32_e32 v189, v25, v189                              // 00000000624C: 0B7B7B19
	v_mul_f32_e32 v190, v25, v190                              // 000000006250: 0B7D7D19
	v_mul_f32_e32 v191, v25, v191                              // 000000006254: 0B7F7F19
	v_mul_f32_dpp v188, v12, v188 row_newbcast:4 row_mask:0xf bank_mask:0xf// 000000006258: 0B7978FA FF01540C
	v_mul_f32_dpp v189, v12, v189 row_newbcast:5 row_mask:0xf bank_mask:0xf// 000000006260: 0B7B7AFA FF01550C
	v_mul_f32_dpp v190, v12, v190 row_newbcast:6 row_mask:0xf bank_mask:0xf// 000000006268: 0B7D7CFA FF01560C
	v_mul_f32_dpp v191, v12, v191 row_newbcast:7 row_mask:0xf bank_mask:0xf// 000000006270: 0B7F7EFA FF01570C
	v_mul_f32_e32 v192, v24, v192                              // 000000006278: 0B818118
	v_mul_f32_e32 v193, v24, v193                              // 00000000627C: 0B838318
	v_mul_f32_e32 v194, v24, v194                              // 000000006280: 0B858518
	v_mul_f32_e32 v195, v24, v195                              // 000000006284: 0B878718
	v_mul_f32_dpp v192, v12, v192 row_newbcast:8 row_mask:0xf bank_mask:0xf// 000000006288: 0B8180FA FF01580C
	v_mul_f32_dpp v193, v12, v193 row_newbcast:9 row_mask:0xf bank_mask:0xf// 000000006290: 0B8382FA FF01590C
	v_mul_f32_dpp v194, v12, v194 row_newbcast:10 row_mask:0xf bank_mask:0xf// 000000006298: 0B8584FA FF015A0C
	v_mul_f32_dpp v195, v12, v195 row_newbcast:11 row_mask:0xf bank_mask:0xf// 0000000062A0: 0B8786FA FF015B0C
	v_mul_f32_e32 v196, v25, v196                              // 0000000062A8: 0B898919
	v_mul_f32_e32 v197, v25, v197                              // 0000000062AC: 0B8B8B19
	v_mul_f32_e32 v198, v25, v198                              // 0000000062B0: 0B8D8D19
	v_mul_f32_e32 v199, v25, v199                              // 0000000062B4: 0B8F8F19
	v_mul_f32_dpp v196, v12, v196 row_newbcast:8 row_mask:0xf bank_mask:0xf// 0000000062B8: 0B8988FA FF01580C
	v_mul_f32_dpp v197, v12, v197 row_newbcast:9 row_mask:0xf bank_mask:0xf// 0000000062C0: 0B8B8AFA FF01590C
	v_mul_f32_dpp v198, v12, v198 row_newbcast:10 row_mask:0xf bank_mask:0xf// 0000000062C8: 0B8D8CFA FF015A0C
	v_mul_f32_dpp v199, v12, v199 row_newbcast:11 row_mask:0xf bank_mask:0xf// 0000000062D0: 0B8F8EFA FF015B0C
	v_mul_f32_e32 v200, v24, v200                              // 0000000062D8: 0B919118
	v_mul_f32_e32 v201, v24, v201                              // 0000000062DC: 0B939318
	v_mul_f32_e32 v202, v24, v202                              // 0000000062E0: 0B959518
	v_mul_f32_e32 v203, v24, v203                              // 0000000062E4: 0B979718
	v_mul_f32_dpp v200, v12, v200 row_newbcast:12 row_mask:0xf bank_mask:0xf// 0000000062E8: 0B9190FA FF015C0C
	v_mul_f32_dpp v201, v12, v201 row_newbcast:13 row_mask:0xf bank_mask:0xf// 0000000062F0: 0B9392FA FF015D0C
	v_mul_f32_dpp v202, v12, v202 row_newbcast:14 row_mask:0xf bank_mask:0xf// 0000000062F8: 0B9594FA FF015E0C
	v_mul_f32_dpp v203, v12, v203 row_newbcast:15 row_mask:0xf bank_mask:0xf// 000000006300: 0B9796FA FF015F0C
	v_mul_f32_e32 v204, v25, v204                              // 000000006308: 0B999919
	v_mul_f32_e32 v205, v25, v205                              // 00000000630C: 0B9B9B19
	v_mul_f32_e32 v206, v25, v206                              // 000000006310: 0B9D9D19
	v_mul_f32_e32 v207, v25, v207                              // 000000006314: 0B9F9F19
	v_mul_f32_dpp v204, v12, v204 row_newbcast:12 row_mask:0xf bank_mask:0xf// 000000006318: 0B9998FA FF015C0C
	v_mul_f32_dpp v205, v12, v205 row_newbcast:13 row_mask:0xf bank_mask:0xf// 000000006320: 0B9B9AFA FF015D0C
	v_mul_f32_dpp v206, v12, v206 row_newbcast:14 row_mask:0xf bank_mask:0xf// 000000006328: 0B9D9CFA FF015E0C
	v_mul_f32_dpp v207, v12, v207 row_newbcast:15 row_mask:0xf bank_mask:0xf// 000000006330: 0B9F9EFA FF015F0C
	v_cmp_u_f32_e64 s[48:49], v176, v176                       // 000000006338: D0480030 000361B0
	v_add3_u32 v44, v176, v47, 1                               // 000000006340: D1FF002C 02065FB0
	v_cndmask_b32_e64 v50, v44, v46, s[48:49]                  // 000000006348: D1000032 00C25D2C
	v_cmp_u_f32_e64 s[48:49], v177, v177                       // 000000006350: D0480030 000363B1
	v_add3_u32 v44, v177, v47, 1                               // 000000006358: D1FF002C 02065FB1
	v_cndmask_b32_e64 v51, v44, v46, s[48:49]                  // 000000006360: D1000033 00C25D2C
	v_perm_b32 v176, v51, v50, s52                             // 000000006368: D1ED00B0 00D26533
	v_cmp_u_f32_e64 s[48:49], v178, v178                       // 000000006370: D0480030 000365B2
	v_add3_u32 v44, v178, v47, 1                               // 000000006378: D1FF002C 02065FB2
	v_cndmask_b32_e64 v50, v44, v46, s[48:49]                  // 000000006380: D1000032 00C25D2C
	v_cmp_u_f32_e64 s[48:49], v179, v179                       // 000000006388: D0480030 000367B3
	v_add3_u32 v44, v179, v47, 1                               // 000000006390: D1FF002C 02065FB3
	v_cndmask_b32_e64 v51, v44, v46, s[48:49]                  // 000000006398: D1000033 00C25D2C
	v_perm_b32 v177, v51, v50, s52                             // 0000000063A0: D1ED00B1 00D26533
	v_cmp_u_f32_e64 s[48:49], v180, v180                       // 0000000063A8: D0480030 000369B4
	v_add3_u32 v44, v180, v47, 1                               // 0000000063B0: D1FF002C 02065FB4
	v_cndmask_b32_e64 v50, v44, v46, s[48:49]                  // 0000000063B8: D1000032 00C25D2C
	v_cmp_u_f32_e64 s[48:49], v181, v181                       // 0000000063C0: D0480030 00036BB5
	v_add3_u32 v44, v181, v47, 1                               // 0000000063C8: D1FF002C 02065FB5
	v_cndmask_b32_e64 v51, v44, v46, s[48:49]                  // 0000000063D0: D1000033 00C25D2C
	v_perm_b32 v178, v51, v50, s52                             // 0000000063D8: D1ED00B2 00D26533
	v_cmp_u_f32_e64 s[48:49], v182, v182                       // 0000000063E0: D0480030 00036DB6
	v_add3_u32 v44, v182, v47, 1                               // 0000000063E8: D1FF002C 02065FB6
	v_cndmask_b32_e64 v50, v44, v46, s[48:49]                  // 0000000063F0: D1000032 00C25D2C
	v_cmp_u_f32_e64 s[48:49], v183, v183                       // 0000000063F8: D0480030 00036FB7
	v_add3_u32 v44, v183, v47, 1                               // 000000006400: D1FF002C 02065FB7
	v_cndmask_b32_e64 v51, v44, v46, s[48:49]                  // 000000006408: D1000033 00C25D2C
	v_perm_b32 v179, v51, v50, s52                             // 000000006410: D1ED00B3 00D26533
	v_cmp_u_f32_e64 s[48:49], v184, v184                       // 000000006418: D0480030 000371B8
	v_add3_u32 v44, v184, v47, 1                               // 000000006420: D1FF002C 02065FB8
	v_cndmask_b32_e64 v50, v44, v46, s[48:49]                  // 000000006428: D1000032 00C25D2C
	v_cmp_u_f32_e64 s[48:49], v185, v185                       // 000000006430: D0480030 000373B9
	v_add3_u32 v44, v185, v47, 1                               // 000000006438: D1FF002C 02065FB9
	v_cndmask_b32_e64 v51, v44, v46, s[48:49]                  // 000000006440: D1000033 00C25D2C
	v_perm_b32 v180, v51, v50, s52                             // 000000006448: D1ED00B4 00D26533
	v_cmp_u_f32_e64 s[48:49], v186, v186                       // 000000006450: D0480030 000375BA
	v_add3_u32 v44, v186, v47, 1                               // 000000006458: D1FF002C 02065FBA
	v_cndmask_b32_e64 v50, v44, v46, s[48:49]                  // 000000006460: D1000032 00C25D2C
	v_cmp_u_f32_e64 s[48:49], v187, v187                       // 000000006468: D0480030 000377BB
	v_add3_u32 v44, v187, v47, 1                               // 000000006470: D1FF002C 02065FBB
	v_cndmask_b32_e64 v51, v44, v46, s[48:49]                  // 000000006478: D1000033 00C25D2C
	v_perm_b32 v181, v51, v50, s52                             // 000000006480: D1ED00B5 00D26533
	v_cmp_u_f32_e64 s[48:49], v188, v188                       // 000000006488: D0480030 000379BC
	v_add3_u32 v44, v188, v47, 1                               // 000000006490: D1FF002C 02065FBC
	v_cndmask_b32_e64 v50, v44, v46, s[48:49]                  // 000000006498: D1000032 00C25D2C
	v_cmp_u_f32_e64 s[48:49], v189, v189                       // 0000000064A0: D0480030 00037BBD
	v_add3_u32 v44, v189, v47, 1                               // 0000000064A8: D1FF002C 02065FBD
	v_cndmask_b32_e64 v51, v44, v46, s[48:49]                  // 0000000064B0: D1000033 00C25D2C
	v_perm_b32 v182, v51, v50, s52                             // 0000000064B8: D1ED00B6 00D26533
	v_cmp_u_f32_e64 s[48:49], v190, v190                       // 0000000064C0: D0480030 00037DBE
	v_add3_u32 v44, v190, v47, 1                               // 0000000064C8: D1FF002C 02065FBE
	v_cndmask_b32_e64 v50, v44, v46, s[48:49]                  // 0000000064D0: D1000032 00C25D2C
	v_cmp_u_f32_e64 s[48:49], v191, v191                       // 0000000064D8: D0480030 00037FBF
	v_add3_u32 v44, v191, v47, 1                               // 0000000064E0: D1FF002C 02065FBF
	v_cndmask_b32_e64 v51, v44, v46, s[48:49]                  // 0000000064E8: D1000033 00C25D2C
	v_perm_b32 v183, v51, v50, s52                             // 0000000064F0: D1ED00B7 00D26533
	v_cmp_u_f32_e64 s[48:49], v192, v192                       // 0000000064F8: D0480030 000381C0
	v_add3_u32 v44, v192, v47, 1                               // 000000006500: D1FF002C 02065FC0
	v_cndmask_b32_e64 v50, v44, v46, s[48:49]                  // 000000006508: D1000032 00C25D2C
	v_cmp_u_f32_e64 s[48:49], v193, v193                       // 000000006510: D0480030 000383C1
	v_add3_u32 v44, v193, v47, 1                               // 000000006518: D1FF002C 02065FC1
	v_cndmask_b32_e64 v51, v44, v46, s[48:49]                  // 000000006520: D1000033 00C25D2C
	v_perm_b32 v184, v51, v50, s52                             // 000000006528: D1ED00B8 00D26533
	v_cmp_u_f32_e64 s[48:49], v194, v194                       // 000000006530: D0480030 000385C2
	v_add3_u32 v44, v194, v47, 1                               // 000000006538: D1FF002C 02065FC2
	v_cndmask_b32_e64 v50, v44, v46, s[48:49]                  // 000000006540: D1000032 00C25D2C
	v_cmp_u_f32_e64 s[48:49], v195, v195                       // 000000006548: D0480030 000387C3
	v_add3_u32 v44, v195, v47, 1                               // 000000006550: D1FF002C 02065FC3
	v_cndmask_b32_e64 v51, v44, v46, s[48:49]                  // 000000006558: D1000033 00C25D2C
	v_perm_b32 v185, v51, v50, s52                             // 000000006560: D1ED00B9 00D26533
	v_cmp_u_f32_e64 s[48:49], v196, v196                       // 000000006568: D0480030 000389C4
	v_add3_u32 v44, v196, v47, 1                               // 000000006570: D1FF002C 02065FC4
	v_cndmask_b32_e64 v50, v44, v46, s[48:49]                  // 000000006578: D1000032 00C25D2C
	v_cmp_u_f32_e64 s[48:49], v197, v197                       // 000000006580: D0480030 00038BC5
	v_add3_u32 v44, v197, v47, 1                               // 000000006588: D1FF002C 02065FC5
	v_cndmask_b32_e64 v51, v44, v46, s[48:49]                  // 000000006590: D1000033 00C25D2C
	v_perm_b32 v186, v51, v50, s52                             // 000000006598: D1ED00BA 00D26533
	v_cmp_u_f32_e64 s[48:49], v198, v198                       // 0000000065A0: D0480030 00038DC6
	v_add3_u32 v44, v198, v47, 1                               // 0000000065A8: D1FF002C 02065FC6
	v_cndmask_b32_e64 v50, v44, v46, s[48:49]                  // 0000000065B0: D1000032 00C25D2C
	v_cmp_u_f32_e64 s[48:49], v199, v199                       // 0000000065B8: D0480030 00038FC7
	v_add3_u32 v44, v199, v47, 1                               // 0000000065C0: D1FF002C 02065FC7
	v_cndmask_b32_e64 v51, v44, v46, s[48:49]                  // 0000000065C8: D1000033 00C25D2C
	v_perm_b32 v187, v51, v50, s52                             // 0000000065D0: D1ED00BB 00D26533
	v_cmp_u_f32_e64 s[48:49], v200, v200                       // 0000000065D8: D0480030 000391C8
	v_add3_u32 v44, v200, v47, 1                               // 0000000065E0: D1FF002C 02065FC8
	v_cndmask_b32_e64 v50, v44, v46, s[48:49]                  // 0000000065E8: D1000032 00C25D2C
	v_cmp_u_f32_e64 s[48:49], v201, v201                       // 0000000065F0: D0480030 000393C9
	v_add3_u32 v44, v201, v47, 1                               // 0000000065F8: D1FF002C 02065FC9
	v_cndmask_b32_e64 v51, v44, v46, s[48:49]                  // 000000006600: D1000033 00C25D2C
	v_perm_b32 v188, v51, v50, s52                             // 000000006608: D1ED00BC 00D26533
	v_cmp_u_f32_e64 s[48:49], v202, v202                       // 000000006610: D0480030 000395CA
	v_add3_u32 v44, v202, v47, 1                               // 000000006618: D1FF002C 02065FCA
	v_cndmask_b32_e64 v50, v44, v46, s[48:49]                  // 000000006620: D1000032 00C25D2C
	v_cmp_u_f32_e64 s[48:49], v203, v203                       // 000000006628: D0480030 000397CB
	v_add3_u32 v44, v203, v47, 1                               // 000000006630: D1FF002C 02065FCB
	v_cndmask_b32_e64 v51, v44, v46, s[48:49]                  // 000000006638: D1000033 00C25D2C
	v_perm_b32 v189, v51, v50, s52                             // 000000006640: D1ED00BD 00D26533
	v_cmp_u_f32_e64 s[48:49], v204, v204                       // 000000006648: D0480030 000399CC
	v_add3_u32 v44, v204, v47, 1                               // 000000006650: D1FF002C 02065FCC
	v_cndmask_b32_e64 v50, v44, v46, s[48:49]                  // 000000006658: D1000032 00C25D2C
	v_cmp_u_f32_e64 s[48:49], v205, v205                       // 000000006660: D0480030 00039BCD
	v_add3_u32 v44, v205, v47, 1                               // 000000006668: D1FF002C 02065FCD
	v_cndmask_b32_e64 v51, v44, v46, s[48:49]                  // 000000006670: D1000033 00C25D2C
	v_perm_b32 v190, v51, v50, s52                             // 000000006678: D1ED00BE 00D26533
	v_cmp_u_f32_e64 s[48:49], v206, v206                       // 000000006680: D0480030 00039DCE
	v_add3_u32 v44, v206, v47, 1                               // 000000006688: D1FF002C 02065FCE
	v_cndmask_b32_e64 v50, v44, v46, s[48:49]                  // 000000006690: D1000032 00C25D2C
	v_cmp_u_f32_e64 s[48:49], v207, v207                       // 000000006698: D0480030 00039FCF
	v_add3_u32 v44, v207, v47, 1                               // 0000000066A0: D1FF002C 02065FCF
	v_cndmask_b32_e64 v51, v44, v46, s[48:49]                  // 0000000066A8: D1000033 00C25D2C
	v_perm_b32 v191, v51, v50, s52                             // 0000000066B0: D1ED00BF 00D26533
	ds_write_b64 v3, v[176:177] offset:30976                   // 0000000066B8: D89A7900 0000B003
	ds_write_b64 v3, v[178:179] offset:39680                   // 0000000066C0: D89A9B00 0000B203
	ds_write_b64 v3, v[180:181] offset:33152                   // 0000000066C8: D89A8180 0000B403
	ds_write_b64 v3, v[182:183] offset:41856                   // 0000000066D0: D89AA380 0000B603
	ds_write_b64 v3, v[184:185] offset:35328                   // 0000000066D8: D89A8A00 0000B803
	ds_write_b64 v3, v[186:187] offset:44032                   // 0000000066E0: D89AAC00 0000BA03
	ds_write_b64 v3, v[188:189] offset:37504                   // 0000000066E8: D89A9280 0000BC03
	ds_write_b64 v3, v[190:191] offset:46208                   // 0000000066F0: D89AB480 0000BE03
	s_waitcnt lgkmcnt(0)                                       // 0000000066F8: BF8CC07F
	s_barrier                                                  // 0000000066FC: BF8A0000
	ds_read_b32 v64, v4 offset:30976                           // 000000006700: D86C7900 40000004
	ds_read_b32 v65, v4 offset:35328                           // 000000006708: D86C8A00 41000004
	ds_read_b32 v66, v4 offset:31008                           // 000000006710: D86C7920 42000004
	ds_read_b32 v67, v4 offset:35360                           // 000000006718: D86C8A20 43000004
	ds_read_b32 v68, v4 offset:31040                           // 000000006720: D86C7940 44000004
	ds_read_b32 v69, v4 offset:35392                           // 000000006728: D86C8A40 45000004
	ds_read_b32 v70, v4 offset:31072                           // 000000006730: D86C7960 46000004
	ds_read_b32 v71, v4 offset:35424                           // 000000006738: D86C8A60 47000004
	ds_read_b32 v72, v4 offset:39680                           // 000000006740: D86C9B00 48000004
	ds_read_b32 v73, v4 offset:44032                           // 000000006748: D86CAC00 49000004
	ds_read_b32 v74, v4 offset:39712                           // 000000006750: D86C9B20 4A000004
	ds_read_b32 v75, v4 offset:44064                           // 000000006758: D86CAC20 4B000004
	ds_read_b32 v76, v4 offset:39744                           // 000000006760: D86C9B40 4C000004
	ds_read_b32 v77, v4 offset:44096                           // 000000006768: D86CAC40 4D000004
	ds_read_b32 v78, v4 offset:39776                           // 000000006770: D86C9B60 4E000004
	ds_read_b32 v79, v4 offset:44128                           // 000000006778: D86CAC60 4F000004
	s_waitcnt lgkmcnt(0)                                       // 000000006780: BF8CC07F
	s_mov_b64 exec, s[20:21]                                   // 000000006784: BEFE0114
	global_atomic_pk_add_bf16 v80, v64, s[8:9]                 // 000000006788: DD488000 00084050
	s_mov_b64 exec, s[36:37]                                   // 000000006790: BEFE0124
	s_mov_b64 exec, s[20:21]                                   // 000000006794: BEFE0114
	global_atomic_pk_add_bf16 v80, v65, s[8:9] offset:256      // 000000006798: DD488100 00084150
	s_mov_b64 exec, s[36:37]                                   // 0000000067A0: BEFE0124
	s_mov_b64 exec, s[22:23]                                   // 0000000067A4: BEFE0116
	global_atomic_pk_add_bf16 v82, v66, s[8:9]                 // 0000000067A8: DD488000 00084252
	s_mov_b64 exec, s[36:37]                                   // 0000000067B0: BEFE0124
	s_mov_b64 exec, s[22:23]                                   // 0000000067B4: BEFE0116
	global_atomic_pk_add_bf16 v82, v67, s[8:9] offset:256      // 0000000067B8: DD488100 00084352
	s_mov_b64 exec, s[36:37]                                   // 0000000067C0: BEFE0124
	s_mov_b64 exec, s[24:25]                                   // 0000000067C4: BEFE0118
	global_atomic_pk_add_bf16 v84, v68, s[8:9]                 // 0000000067C8: DD488000 00084454
	s_mov_b64 exec, s[36:37]                                   // 0000000067D0: BEFE0124
	s_mov_b64 exec, s[24:25]                                   // 0000000067D4: BEFE0118
	global_atomic_pk_add_bf16 v84, v69, s[8:9] offset:256      // 0000000067D8: DD488100 00084554
	s_mov_b64 exec, s[36:37]                                   // 0000000067E0: BEFE0124
	s_mov_b64 exec, s[26:27]                                   // 0000000067E4: BEFE011A
	global_atomic_pk_add_bf16 v86, v70, s[8:9]                 // 0000000067E8: DD488000 00084656
	s_mov_b64 exec, s[36:37]                                   // 0000000067F0: BEFE0124
	s_mov_b64 exec, s[26:27]                                   // 0000000067F4: BEFE011A
	global_atomic_pk_add_bf16 v86, v71, s[8:9] offset:256      // 0000000067F8: DD488100 00084756
	s_mov_b64 exec, s[36:37]                                   // 000000006800: BEFE0124
	s_mov_b64 exec, s[28:29]                                   // 000000006804: BEFE011C
	global_atomic_pk_add_bf16 v88, v72, s[8:9]                 // 000000006808: DD488000 00084858
	s_mov_b64 exec, s[36:37]                                   // 000000006810: BEFE0124
	s_mov_b64 exec, s[28:29]                                   // 000000006814: BEFE011C
	global_atomic_pk_add_bf16 v88, v73, s[8:9] offset:256      // 000000006818: DD488100 00084958
	s_mov_b64 exec, s[36:37]                                   // 000000006820: BEFE0124
	s_mov_b64 exec, s[30:31]                                   // 000000006824: BEFE011E
	global_atomic_pk_add_bf16 v90, v74, s[8:9]                 // 000000006828: DD488000 00084A5A
	s_mov_b64 exec, s[36:37]                                   // 000000006830: BEFE0124
	s_mov_b64 exec, s[30:31]                                   // 000000006834: BEFE011E
	global_atomic_pk_add_bf16 v90, v75, s[8:9] offset:256      // 000000006838: DD488100 00084B5A
	s_mov_b64 exec, s[36:37]                                   // 000000006840: BEFE0124
	s_mov_b64 exec, s[32:33]                                   // 000000006844: BEFE0120
	global_atomic_pk_add_bf16 v92, v76, s[8:9]                 // 000000006848: DD488000 00084C5C
	s_mov_b64 exec, s[36:37]                                   // 000000006850: BEFE0124
	s_mov_b64 exec, s[32:33]                                   // 000000006854: BEFE0120
	global_atomic_pk_add_bf16 v92, v77, s[8:9] offset:256      // 000000006858: DD488100 00084D5C
	s_mov_b64 exec, s[36:37]                                   // 000000006860: BEFE0124
	s_mov_b64 exec, s[34:35]                                   // 000000006864: BEFE0122
	global_atomic_pk_add_bf16 v94, v78, s[8:9]                 // 000000006868: DD488000 00084E5E
	s_mov_b64 exec, s[36:37]                                   // 000000006870: BEFE0124
	s_mov_b64 exec, s[34:35]                                   // 000000006874: BEFE0122
	global_atomic_pk_add_bf16 v94, v79, s[8:9] offset:256      // 000000006878: DD488100 00084F5E
	s_mov_b64 exec, s[36:37]                                   // 000000006880: BEFE0124
	s_add_u32 s8, s59, s8                                      // 000000006884: 8008083B
	s_addc_u32 s9, 0, s9                                       // 000000006888: 82090980
	s_addk_i32 s80, 0x100                                      // 00000000688C: B7500100
	s_cmp_lt_i32 s80, s81                                      // 000000006890: BF045150
	s_cbranch_scc0 label_116C                                  // 000000006894: BF8402C6
	s_waitcnt vmcnt(37)                                        // 000000006898: BF8C8F75
	s_barrier                                                  // 00000000689C: BF8A0000
	v_mfma_f32_16x16x32_fp8_fp8 v[208:211], a[96:97], v[128:129], 0// 0000000068A0: D3F300D0 0A030160
	v_mfma_f32_16x16x32_fp8_fp8 v[208:211], a[98:99], v[130:131], v[208:211]// 0000000068A8: D3F300D0 0F430562
	buffer_load_dwordx4 a[0:3], v40, s[12:15], 0 offen         // 0000000068B0: E05C1000 80830028
	v_mfma_f32_16x16x32_fp8_fp8 v[212:215], a[96:97], v[152:153], 0// 0000000068B8: D3F300D4 0A033160
	v_mfma_f32_16x16x32_fp8_fp8 v[212:215], a[98:99], v[154:155], v[212:215]// 0000000068C0: D3F300D4 0F533562
	v_mfma_f32_16x16x32_fp8_fp8 v[216:219], a[100:101], v[128:129], 0// 0000000068C8: D3F300D8 0A030164
	v_mfma_f32_16x16x32_fp8_fp8 v[216:219], a[102:103], v[130:131], v[216:219]// 0000000068D0: D3F300D8 0F630566
	buffer_load_dwordx4 a[4:7], v41, s[12:15], 0 offen         // 0000000068D8: E05C1000 80830429
	v_mfma_f32_16x16x32_fp8_fp8 v[220:223], a[100:101], v[152:153], 0// 0000000068E0: D3F300DC 0A033164
	v_mfma_f32_16x16x32_fp8_fp8 v[220:223], a[102:103], v[154:155], v[220:223]// 0000000068E8: D3F300DC 0F733566
	v_mfma_f32_16x16x32_fp8_fp8 v[224:227], a[104:105], v[128:129], 0// 0000000068F0: D3F300E0 0A030168
	v_mfma_f32_16x16x32_fp8_fp8 v[224:227], a[106:107], v[130:131], v[224:227]// 0000000068F8: D3F300E0 0F83056A
	buffer_load_dwordx4 a[8:11], v42, s[12:15], 0 offen        // 000000006900: E05C1000 8083082A
	v_mfma_f32_16x16x32_fp8_fp8 v[228:231], a[104:105], v[152:153], 0// 000000006908: D3F300E4 0A033168
	v_mfma_f32_16x16x32_fp8_fp8 v[228:231], a[106:107], v[154:155], v[228:231]// 000000006910: D3F300E4 0F93356A
	v_mfma_f32_16x16x32_fp8_fp8 v[232:235], a[108:109], v[128:129], 0// 000000006918: D3F300E8 0A03016C
	v_mfma_f32_16x16x32_fp8_fp8 v[232:235], a[110:111], v[130:131], v[232:235]// 000000006920: D3F300E8 0FA3056E
	buffer_load_dwordx4 a[12:15], v43, s[12:15], 0 offen       // 000000006928: E05C1000 80830C2B
	s_add_u32 s12, s78, s12                                    // 000000006930: 800C0C4E
	s_addc_u32 s13, 0, s13                                     // 000000006934: 820D0D80
	v_mfma_f32_16x16x32_fp8_fp8 v[236:239], a[108:109], v[152:153], 0// 000000006938: D3F300EC 0A03316C
	v_mfma_f32_16x16x32_fp8_fp8 v[236:239], a[110:111], v[154:155], v[236:239]// 000000006940: D3F300EC 0FB3356E
	s_waitcnt vmcnt(37)                                        // 000000006948: BF8C8F75
	v_mfma_f32_16x16x32_fp8_fp8 v[208:211], a[112:113], v[132:133], v[208:211]// 00000000694C: D3F300D0 0F430970
	v_mfma_f32_16x16x32_fp8_fp8 v[208:211], a[114:115], v[134:135], v[208:211]// 000000006954: D3F300D0 0F430D72
	buffer_load_dwordx4 a[16:19], v40, s[12:15], 0 offen       // 00000000695C: E05C1000 80831028
	v_mfma_f32_16x16x32_fp8_fp8 v[212:215], a[112:113], v[156:157], v[212:215]// 000000006964: D3F300D4 0F533970
	v_mfma_f32_16x16x32_fp8_fp8 v[212:215], a[114:115], v[158:159], v[212:215]// 00000000696C: D3F300D4 0F533D72
	v_mfma_f32_16x16x32_fp8_fp8 v[216:219], a[116:117], v[132:133], v[216:219]// 000000006974: D3F300D8 0F630974
	v_mfma_f32_16x16x32_fp8_fp8 v[216:219], a[118:119], v[134:135], v[216:219]// 00000000697C: D3F300D8 0F630D76
	buffer_load_dwordx4 a[20:23], v41, s[12:15], 0 offen       // 000000006984: E05C1000 80831429
	v_mfma_f32_16x16x32_fp8_fp8 v[220:223], a[116:117], v[156:157], v[220:223]// 00000000698C: D3F300DC 0F733974
	v_mfma_f32_16x16x32_fp8_fp8 v[220:223], a[118:119], v[158:159], v[220:223]// 000000006994: D3F300DC 0F733D76
	v_mfma_f32_16x16x32_fp8_fp8 v[224:227], a[120:121], v[132:133], v[224:227]// 00000000699C: D3F300E0 0F830978
	v_mfma_f32_16x16x32_fp8_fp8 v[224:227], a[122:123], v[134:135], v[224:227]// 0000000069A4: D3F300E0 0F830D7A
	buffer_load_dwordx4 a[24:27], v42, s[12:15], 0 offen       // 0000000069AC: E05C1000 8083182A
	v_mfma_f32_16x16x32_fp8_fp8 v[228:231], a[120:121], v[156:157], v[228:231]// 0000000069B4: D3F300E4 0F933978
	v_mfma_f32_16x16x32_fp8_fp8 v[228:231], a[122:123], v[158:159], v[228:231]// 0000000069BC: D3F300E4 0F933D7A
	v_mfma_f32_16x16x32_fp8_fp8 v[232:235], a[124:125], v[132:133], v[232:235]// 0000000069C4: D3F300E8 0FA3097C
	v_mfma_f32_16x16x32_fp8_fp8 v[232:235], a[126:127], v[134:135], v[232:235]// 0000000069CC: D3F300E8 0FA30D7E
	buffer_load_dwordx4 a[28:31], v43, s[12:15], 0 offen       // 0000000069D4: E05C1000 80831C2B
	s_add_u32 s12, s78, s12                                    // 0000000069DC: 800C0C4E
	s_addc_u32 s13, 0, s13                                     // 0000000069E0: 820D0D80
	v_mfma_f32_16x16x32_fp8_fp8 v[236:239], a[124:125], v[156:157], v[236:239]// 0000000069E4: D3F300EC 0FB3397C
	v_mfma_f32_16x16x32_fp8_fp8 v[236:239], a[126:127], v[158:159], v[236:239]// 0000000069EC: D3F300EC 0FB33D7E
	s_waitcnt vmcnt(37)                                        // 0000000069F4: BF8C8F75
	v_mfma_f32_16x16x32_fp8_fp8 v[208:211], a[128:129], v[136:137], v[208:211]// 0000000069F8: D3F300D0 0F431180
	v_mfma_f32_16x16x32_fp8_fp8 v[208:211], a[130:131], v[138:139], v[208:211]// 000000006A00: D3F300D0 0F431582
	buffer_load_dwordx4 a[32:35], v40, s[12:15], 0 offen       // 000000006A08: E05C1000 80832028
	v_mfma_f32_16x16x32_fp8_fp8 v[212:215], a[128:129], v[160:161], v[212:215]// 000000006A10: D3F300D4 0F534180
	v_mfma_f32_16x16x32_fp8_fp8 v[212:215], a[130:131], v[162:163], v[212:215]// 000000006A18: D3F300D4 0F534582
	v_mfma_f32_16x16x32_fp8_fp8 v[216:219], a[132:133], v[136:137], v[216:219]// 000000006A20: D3F300D8 0F631184
	v_mfma_f32_16x16x32_fp8_fp8 v[216:219], a[134:135], v[138:139], v[216:219]// 000000006A28: D3F300D8 0F631586
	buffer_load_dwordx4 a[36:39], v41, s[12:15], 0 offen       // 000000006A30: E05C1000 80832429
	v_mfma_f32_16x16x32_fp8_fp8 v[220:223], a[132:133], v[160:161], v[220:223]// 000000006A38: D3F300DC 0F734184
	v_mfma_f32_16x16x32_fp8_fp8 v[220:223], a[134:135], v[162:163], v[220:223]// 000000006A40: D3F300DC 0F734586
	v_mfma_f32_16x16x32_fp8_fp8 v[224:227], a[136:137], v[136:137], v[224:227]// 000000006A48: D3F300E0 0F831188
	v_mfma_f32_16x16x32_fp8_fp8 v[224:227], a[138:139], v[138:139], v[224:227]// 000000006A50: D3F300E0 0F83158A
	buffer_load_dwordx4 a[40:43], v42, s[12:15], 0 offen       // 000000006A58: E05C1000 8083282A
	v_mfma_f32_16x16x32_fp8_fp8 v[228:231], a[136:137], v[160:161], v[228:231]// 000000006A60: D3F300E4 0F934188
	v_mfma_f32_16x16x32_fp8_fp8 v[228:231], a[138:139], v[162:163], v[228:231]// 000000006A68: D3F300E4 0F93458A
	v_mfma_f32_16x16x32_fp8_fp8 v[232:235], a[140:141], v[136:137], v[232:235]// 000000006A70: D3F300E8 0FA3118C
	v_mfma_f32_16x16x32_fp8_fp8 v[232:235], a[142:143], v[138:139], v[232:235]// 000000006A78: D3F300E8 0FA3158E
	buffer_load_dwordx4 a[44:47], v43, s[12:15], 0 offen       // 000000006A80: E05C1000 80832C2B
	s_add_u32 s12, s78, s12                                    // 000000006A88: 800C0C4E
	s_addc_u32 s13, 0, s13                                     // 000000006A8C: 820D0D80
	v_mfma_f32_16x16x32_fp8_fp8 v[236:239], a[140:141], v[160:161], v[236:239]// 000000006A90: D3F300EC 0FB3418C
	v_mfma_f32_16x16x32_fp8_fp8 v[236:239], a[142:143], v[162:163], v[236:239]// 000000006A98: D3F300EC 0FB3458E
	s_waitcnt vmcnt(37)                                        // 000000006AA0: BF8C8F75
	v_mfma_f32_16x16x32_fp8_fp8 v[208:211], a[144:145], v[140:141], v[208:211]// 000000006AA4: D3F300D0 0F431990
	v_mfma_f32_16x16x32_fp8_fp8 v[208:211], a[146:147], v[142:143], v[208:211]// 000000006AAC: D3F300D0 0F431D92
	buffer_load_dwordx4 a[48:51], v40, s[12:15], 0 offen       // 000000006AB4: E05C1000 80833028
	v_mfma_f32_16x16x32_fp8_fp8 v[212:215], a[144:145], v[164:165], v[212:215]// 000000006ABC: D3F300D4 0F534990
	v_mfma_f32_16x16x32_fp8_fp8 v[212:215], a[146:147], v[166:167], v[212:215]// 000000006AC4: D3F300D4 0F534D92
	v_mfma_f32_16x16x32_fp8_fp8 v[216:219], a[148:149], v[140:141], v[216:219]// 000000006ACC: D3F300D8 0F631994
	v_mfma_f32_16x16x32_fp8_fp8 v[216:219], a[150:151], v[142:143], v[216:219]// 000000006AD4: D3F300D8 0F631D96
	buffer_load_dwordx4 a[52:55], v41, s[12:15], 0 offen       // 000000006ADC: E05C1000 80833429
	v_mfma_f32_16x16x32_fp8_fp8 v[220:223], a[148:149], v[164:165], v[220:223]// 000000006AE4: D3F300DC 0F734994
	v_mfma_f32_16x16x32_fp8_fp8 v[220:223], a[150:151], v[166:167], v[220:223]// 000000006AEC: D3F300DC 0F734D96
	v_mfma_f32_16x16x32_fp8_fp8 v[224:227], a[152:153], v[140:141], v[224:227]// 000000006AF4: D3F300E0 0F831998
	v_mfma_f32_16x16x32_fp8_fp8 v[224:227], a[154:155], v[142:143], v[224:227]// 000000006AFC: D3F300E0 0F831D9A
	buffer_load_dwordx4 a[56:59], v42, s[12:15], 0 offen       // 000000006B04: E05C1000 8083382A
	v_mfma_f32_16x16x32_fp8_fp8 v[228:231], a[152:153], v[164:165], v[228:231]// 000000006B0C: D3F300E4 0F934998
	v_mfma_f32_16x16x32_fp8_fp8 v[228:231], a[154:155], v[166:167], v[228:231]// 000000006B14: D3F300E4 0F934D9A
	v_mfma_f32_16x16x32_fp8_fp8 v[232:235], a[156:157], v[140:141], v[232:235]// 000000006B1C: D3F300E8 0FA3199C
	v_mfma_f32_16x16x32_fp8_fp8 v[232:235], a[158:159], v[142:143], v[232:235]// 000000006B24: D3F300E8 0FA31D9E
	buffer_load_dwordx4 a[60:63], v43, s[12:15], 0 offen       // 000000006B2C: E05C1000 80833C2B
	s_add_u32 s12, s78, s12                                    // 000000006B34: 800C0C4E
	s_addc_u32 s13, 0, s13                                     // 000000006B38: 820D0D80
	v_mfma_f32_16x16x32_fp8_fp8 v[236:239], a[156:157], v[164:165], v[236:239]// 000000006B3C: D3F300EC 0FB3499C
	v_mfma_f32_16x16x32_fp8_fp8 v[236:239], a[158:159], v[166:167], v[236:239]// 000000006B44: D3F300EC 0FB34D9E
	s_waitcnt vmcnt(37)                                        // 000000006B4C: BF8C8F75
	v_mfma_f32_16x16x32_fp8_fp8 v[208:211], a[160:161], v[144:145], v[208:211]// 000000006B50: D3F300D0 0F4321A0
	v_mfma_f32_16x16x32_fp8_fp8 v[208:211], a[162:163], v[146:147], v[208:211]// 000000006B58: D3F300D0 0F4325A2
	buffer_load_dwordx4 a[64:67], v40, s[12:15], 0 offen       // 000000006B60: E05C1000 80834028
	v_mfma_f32_16x16x32_fp8_fp8 v[212:215], a[160:161], v[168:169], v[212:215]// 000000006B68: D3F300D4 0F5351A0
	v_mfma_f32_16x16x32_fp8_fp8 v[212:215], a[162:163], v[170:171], v[212:215]// 000000006B70: D3F300D4 0F5355A2
	v_mfma_f32_16x16x32_fp8_fp8 v[216:219], a[164:165], v[144:145], v[216:219]// 000000006B78: D3F300D8 0F6321A4
	v_mfma_f32_16x16x32_fp8_fp8 v[216:219], a[166:167], v[146:147], v[216:219]// 000000006B80: D3F300D8 0F6325A6
	buffer_load_dwordx4 a[68:71], v41, s[12:15], 0 offen       // 000000006B88: E05C1000 80834429
	v_mfma_f32_16x16x32_fp8_fp8 v[220:223], a[164:165], v[168:169], v[220:223]// 000000006B90: D3F300DC 0F7351A4
	v_mfma_f32_16x16x32_fp8_fp8 v[220:223], a[166:167], v[170:171], v[220:223]// 000000006B98: D3F300DC 0F7355A6
	v_mfma_f32_16x16x32_fp8_fp8 v[224:227], a[168:169], v[144:145], v[224:227]// 000000006BA0: D3F300E0 0F8321A8
	v_mfma_f32_16x16x32_fp8_fp8 v[224:227], a[170:171], v[146:147], v[224:227]// 000000006BA8: D3F300E0 0F8325AA
	buffer_load_dwordx4 a[72:75], v42, s[12:15], 0 offen       // 000000006BB0: E05C1000 8083482A
	v_mfma_f32_16x16x32_fp8_fp8 v[228:231], a[168:169], v[168:169], v[228:231]// 000000006BB8: D3F300E4 0F9351A8
	v_mfma_f32_16x16x32_fp8_fp8 v[228:231], a[170:171], v[170:171], v[228:231]// 000000006BC0: D3F300E4 0F9355AA
	v_mfma_f32_16x16x32_fp8_fp8 v[232:235], a[172:173], v[144:145], v[232:235]// 000000006BC8: D3F300E8 0FA321AC
	v_mfma_f32_16x16x32_fp8_fp8 v[232:235], a[174:175], v[146:147], v[232:235]// 000000006BD0: D3F300E8 0FA325AE
	buffer_load_dwordx4 a[76:79], v43, s[12:15], 0 offen       // 000000006BD8: E05C1000 80834C2B
	s_add_u32 s12, s78, s12                                    // 000000006BE0: 800C0C4E
	s_addc_u32 s13, 0, s13                                     // 000000006BE4: 820D0D80
	v_mfma_f32_16x16x32_fp8_fp8 v[236:239], a[172:173], v[168:169], v[236:239]// 000000006BE8: D3F300EC 0FB351AC
	v_mfma_f32_16x16x32_fp8_fp8 v[236:239], a[174:175], v[170:171], v[236:239]// 000000006BF0: D3F300EC 0FB355AE
	s_waitcnt vmcnt(36)                                        // 000000006BF8: BF8C8F74
	v_mfma_f32_16x16x32_fp8_fp8 v[208:211], a[176:177], v[148:149], v[208:211]// 000000006BFC: D3F300D0 0F4329B0
	v_mfma_f32_16x16x32_fp8_fp8 v[208:211], a[178:179], v[150:151], v[208:211]// 000000006C04: D3F300D0 0F432DB2
	buffer_load_dwordx4 a[80:83], v40, s[12:15], 0 offen       // 000000006C0C: E05C1000 80835028
	v_mfma_f32_16x16x32_fp8_fp8 v[212:215], a[176:177], v[172:173], v[212:215]// 000000006C14: D3F300D4 0F5359B0
	v_mfma_f32_16x16x32_fp8_fp8 v[212:215], a[178:179], v[174:175], v[212:215]// 000000006C1C: D3F300D4 0F535DB2
	buffer_load_dword v12, v5, s[16:19], 0 offen               // 000000006C24: E0501000 80040C05
	v_mfma_f32_16x16x32_fp8_fp8 v[216:219], a[180:181], v[148:149], v[216:219]// 000000006C2C: D3F300D8 0F6329B4
	v_mfma_f32_16x16x32_fp8_fp8 v[216:219], a[182:183], v[150:151], v[216:219]// 000000006C34: D3F300D8 0F632DB6
	buffer_load_dwordx4 a[84:87], v41, s[12:15], 0 offen       // 000000006C3C: E05C1000 80835429
	v_mfma_f32_16x16x32_fp8_fp8 v[220:223], a[180:181], v[172:173], v[220:223]// 000000006C44: D3F300DC 0F7359B4
	v_mfma_f32_16x16x32_fp8_fp8 v[220:223], a[182:183], v[174:175], v[220:223]// 000000006C4C: D3F300DC 0F735DB6
	v_mfma_f32_16x16x32_fp8_fp8 v[224:227], a[184:185], v[148:149], v[224:227]// 000000006C54: D3F300E0 0F8329B8
	v_mfma_f32_16x16x32_fp8_fp8 v[224:227], a[186:187], v[150:151], v[224:227]// 000000006C5C: D3F300E0 0F832DBA
	buffer_load_dwordx4 a[88:91], v42, s[12:15], 0 offen       // 000000006C64: E05C1000 8083582A
	v_mfma_f32_16x16x32_fp8_fp8 v[228:231], a[184:185], v[172:173], v[228:231]// 000000006C6C: D3F300E4 0F9359B8
	v_mfma_f32_16x16x32_fp8_fp8 v[228:231], a[186:187], v[174:175], v[228:231]// 000000006C74: D3F300E4 0F935DBA
	v_mfma_f32_16x16x32_fp8_fp8 v[232:235], a[188:189], v[148:149], v[232:235]// 000000006C7C: D3F300E8 0FA329BC
	v_mfma_f32_16x16x32_fp8_fp8 v[232:235], a[190:191], v[150:151], v[232:235]// 000000006C84: D3F300E8 0FA32DBE
	buffer_load_dwordx4 a[92:95], v43, s[12:15], 0 offen       // 000000006C8C: E05C1000 80835C2B
	v_mfma_f32_16x16x32_fp8_fp8 v[236:239], a[188:189], v[172:173], v[236:239]// 000000006C94: D3F300EC 0FB359BC
	v_mfma_f32_16x16x32_fp8_fp8 v[236:239], a[190:191], v[174:175], v[236:239]// 000000006C9C: D3F300EC 0FB35DBE
	s_add_u32 s60, 0x200, s80                                  // 000000006CA4: 803C50FF 00000200
	s_cmp_lt_u32 s60, s81                                      // 000000006CAC: BF0A513C
	s_cselect_b32 s56, s56, 0                                  // 000000006CB0: 85388038
	s_cselect_b32 s78, s78, 0                                  // 000000006CB4: 854E804E
	s_cselect_b32 s79, s79, 0                                  // 000000006CB8: 854F804F
	s_add_u32 s12, s56, s12                                    // 000000006CBC: 800C0C38
	s_addc_u32 s13, 0, s13                                     // 000000006CC0: 820D0D80
	s_add_u32 s16, s79, s16                                    // 000000006CC4: 8010104F
	s_addc_u32 s17, 0, s17                                     // 000000006CC8: 82111180
	v_mul_f32_e32 v208, v24, v208                              // 000000006CCC: 0BA1A118
	v_mul_f32_e32 v209, v24, v209                              // 000000006CD0: 0BA3A318
	v_mul_f32_e32 v210, v24, v210                              // 000000006CD4: 0BA5A518
	v_mul_f32_e32 v211, v24, v211                              // 000000006CD8: 0BA7A718
	v_mul_f32_dpp v208, v13, v208 row_newbcast:0 row_mask:0xf bank_mask:0xf// 000000006CDC: 0BA1A0FA FF01500D
	v_mul_f32_dpp v209, v13, v209 row_newbcast:1 row_mask:0xf bank_mask:0xf// 000000006CE4: 0BA3A2FA FF01510D
	v_mul_f32_dpp v210, v13, v210 row_newbcast:2 row_mask:0xf bank_mask:0xf// 000000006CEC: 0BA5A4FA FF01520D
	v_mul_f32_dpp v211, v13, v211 row_newbcast:3 row_mask:0xf bank_mask:0xf// 000000006CF4: 0BA7A6FA FF01530D
	v_mul_f32_e32 v212, v25, v212                              // 000000006CFC: 0BA9A919
	v_mul_f32_e32 v213, v25, v213                              // 000000006D00: 0BABAB19
	v_mul_f32_e32 v214, v25, v214                              // 000000006D04: 0BADAD19
	v_mul_f32_e32 v215, v25, v215                              // 000000006D08: 0BAFAF19
	v_mul_f32_dpp v212, v13, v212 row_newbcast:0 row_mask:0xf bank_mask:0xf// 000000006D0C: 0BA9A8FA FF01500D
	v_mul_f32_dpp v213, v13, v213 row_newbcast:1 row_mask:0xf bank_mask:0xf// 000000006D14: 0BABAAFA FF01510D
	v_mul_f32_dpp v214, v13, v214 row_newbcast:2 row_mask:0xf bank_mask:0xf// 000000006D1C: 0BADACFA FF01520D
	v_mul_f32_dpp v215, v13, v215 row_newbcast:3 row_mask:0xf bank_mask:0xf// 000000006D24: 0BAFAEFA FF01530D
	v_mul_f32_e32 v216, v24, v216                              // 000000006D2C: 0BB1B118
	v_mul_f32_e32 v217, v24, v217                              // 000000006D30: 0BB3B318
	v_mul_f32_e32 v218, v24, v218                              // 000000006D34: 0BB5B518
	v_mul_f32_e32 v219, v24, v219                              // 000000006D38: 0BB7B718
	v_mul_f32_dpp v216, v13, v216 row_newbcast:4 row_mask:0xf bank_mask:0xf// 000000006D3C: 0BB1B0FA FF01540D
	v_mul_f32_dpp v217, v13, v217 row_newbcast:5 row_mask:0xf bank_mask:0xf// 000000006D44: 0BB3B2FA FF01550D
	v_mul_f32_dpp v218, v13, v218 row_newbcast:6 row_mask:0xf bank_mask:0xf// 000000006D4C: 0BB5B4FA FF01560D
	v_mul_f32_dpp v219, v13, v219 row_newbcast:7 row_mask:0xf bank_mask:0xf// 000000006D54: 0BB7B6FA FF01570D
	v_mul_f32_e32 v220, v25, v220                              // 000000006D5C: 0BB9B919
	v_mul_f32_e32 v221, v25, v221                              // 000000006D60: 0BBBBB19
	v_mul_f32_e32 v222, v25, v222                              // 000000006D64: 0BBDBD19
	v_mul_f32_e32 v223, v25, v223                              // 000000006D68: 0BBFBF19
	v_mul_f32_dpp v220, v13, v220 row_newbcast:4 row_mask:0xf bank_mask:0xf// 000000006D6C: 0BB9B8FA FF01540D
	v_mul_f32_dpp v221, v13, v221 row_newbcast:5 row_mask:0xf bank_mask:0xf// 000000006D74: 0BBBBAFA FF01550D
	v_mul_f32_dpp v222, v13, v222 row_newbcast:6 row_mask:0xf bank_mask:0xf// 000000006D7C: 0BBDBCFA FF01560D
	v_mul_f32_dpp v223, v13, v223 row_newbcast:7 row_mask:0xf bank_mask:0xf// 000000006D84: 0BBFBEFA FF01570D
	v_mul_f32_e32 v224, v24, v224                              // 000000006D8C: 0BC1C118
	v_mul_f32_e32 v225, v24, v225                              // 000000006D90: 0BC3C318
	v_mul_f32_e32 v226, v24, v226                              // 000000006D94: 0BC5C518
	v_mul_f32_e32 v227, v24, v227                              // 000000006D98: 0BC7C718
	v_mul_f32_dpp v224, v13, v224 row_newbcast:8 row_mask:0xf bank_mask:0xf// 000000006D9C: 0BC1C0FA FF01580D
	v_mul_f32_dpp v225, v13, v225 row_newbcast:9 row_mask:0xf bank_mask:0xf// 000000006DA4: 0BC3C2FA FF01590D
	v_mul_f32_dpp v226, v13, v226 row_newbcast:10 row_mask:0xf bank_mask:0xf// 000000006DAC: 0BC5C4FA FF015A0D
	v_mul_f32_dpp v227, v13, v227 row_newbcast:11 row_mask:0xf bank_mask:0xf// 000000006DB4: 0BC7C6FA FF015B0D
	v_mul_f32_e32 v228, v25, v228                              // 000000006DBC: 0BC9C919
	v_mul_f32_e32 v229, v25, v229                              // 000000006DC0: 0BCBCB19
	v_mul_f32_e32 v230, v25, v230                              // 000000006DC4: 0BCDCD19
	v_mul_f32_e32 v231, v25, v231                              // 000000006DC8: 0BCFCF19
	v_mul_f32_dpp v228, v13, v228 row_newbcast:8 row_mask:0xf bank_mask:0xf// 000000006DCC: 0BC9C8FA FF01580D
	v_mul_f32_dpp v229, v13, v229 row_newbcast:9 row_mask:0xf bank_mask:0xf// 000000006DD4: 0BCBCAFA FF01590D
	v_mul_f32_dpp v230, v13, v230 row_newbcast:10 row_mask:0xf bank_mask:0xf// 000000006DDC: 0BCDCCFA FF015A0D
	v_mul_f32_dpp v231, v13, v231 row_newbcast:11 row_mask:0xf bank_mask:0xf// 000000006DE4: 0BCFCEFA FF015B0D
	v_mul_f32_e32 v232, v24, v232                              // 000000006DEC: 0BD1D118
	v_mul_f32_e32 v233, v24, v233                              // 000000006DF0: 0BD3D318
	v_mul_f32_e32 v234, v24, v234                              // 000000006DF4: 0BD5D518
	v_mul_f32_e32 v235, v24, v235                              // 000000006DF8: 0BD7D718
	v_mul_f32_dpp v232, v13, v232 row_newbcast:12 row_mask:0xf bank_mask:0xf// 000000006DFC: 0BD1D0FA FF015C0D
	v_mul_f32_dpp v233, v13, v233 row_newbcast:13 row_mask:0xf bank_mask:0xf// 000000006E04: 0BD3D2FA FF015D0D
	v_mul_f32_dpp v234, v13, v234 row_newbcast:14 row_mask:0xf bank_mask:0xf// 000000006E0C: 0BD5D4FA FF015E0D
	v_mul_f32_dpp v235, v13, v235 row_newbcast:15 row_mask:0xf bank_mask:0xf// 000000006E14: 0BD7D6FA FF015F0D
	v_mul_f32_e32 v236, v25, v236                              // 000000006E1C: 0BD9D919
	v_mul_f32_e32 v237, v25, v237                              // 000000006E20: 0BDBDB19
	v_mul_f32_e32 v238, v25, v238                              // 000000006E24: 0BDDDD19
	v_mul_f32_e32 v239, v25, v239                              // 000000006E28: 0BDFDF19
	v_mul_f32_dpp v236, v13, v236 row_newbcast:12 row_mask:0xf bank_mask:0xf// 000000006E2C: 0BD9D8FA FF015C0D
	v_mul_f32_dpp v237, v13, v237 row_newbcast:13 row_mask:0xf bank_mask:0xf// 000000006E34: 0BDBDAFA FF015D0D
	v_mul_f32_dpp v238, v13, v238 row_newbcast:14 row_mask:0xf bank_mask:0xf// 000000006E3C: 0BDDDCFA FF015E0D
	v_mul_f32_dpp v239, v13, v239 row_newbcast:15 row_mask:0xf bank_mask:0xf// 000000006E44: 0BDFDEFA FF015F0D
	v_cmp_u_f32_e64 s[48:49], v208, v208                       // 000000006E4C: D0480030 0003A1D0
	v_add3_u32 v44, v208, v47, 1                               // 000000006E54: D1FF002C 02065FD0
	v_cndmask_b32_e64 v50, v44, v46, s[48:49]                  // 000000006E5C: D1000032 00C25D2C
	v_cmp_u_f32_e64 s[48:49], v209, v209                       // 000000006E64: D0480030 0003A3D1
	v_add3_u32 v44, v209, v47, 1                               // 000000006E6C: D1FF002C 02065FD1
	v_cndmask_b32_e64 v51, v44, v46, s[48:49]                  // 000000006E74: D1000033 00C25D2C
	v_perm_b32 v208, v51, v50, s52                             // 000000006E7C: D1ED00D0 00D26533
	v_cmp_u_f32_e64 s[48:49], v210, v210                       // 000000006E84: D0480030 0003A5D2
	v_add3_u32 v44, v210, v47, 1                               // 000000006E8C: D1FF002C 02065FD2
	v_cndmask_b32_e64 v50, v44, v46, s[48:49]                  // 000000006E94: D1000032 00C25D2C
	v_cmp_u_f32_e64 s[48:49], v211, v211                       // 000000006E9C: D0480030 0003A7D3
	v_add3_u32 v44, v211, v47, 1                               // 000000006EA4: D1FF002C 02065FD3
	v_cndmask_b32_e64 v51, v44, v46, s[48:49]                  // 000000006EAC: D1000033 00C25D2C
	v_perm_b32 v209, v51, v50, s52                             // 000000006EB4: D1ED00D1 00D26533
	v_cmp_u_f32_e64 s[48:49], v212, v212                       // 000000006EBC: D0480030 0003A9D4
	v_add3_u32 v44, v212, v47, 1                               // 000000006EC4: D1FF002C 02065FD4
	v_cndmask_b32_e64 v50, v44, v46, s[48:49]                  // 000000006ECC: D1000032 00C25D2C
	v_cmp_u_f32_e64 s[48:49], v213, v213                       // 000000006ED4: D0480030 0003ABD5
	v_add3_u32 v44, v213, v47, 1                               // 000000006EDC: D1FF002C 02065FD5
	v_cndmask_b32_e64 v51, v44, v46, s[48:49]                  // 000000006EE4: D1000033 00C25D2C
	v_perm_b32 v210, v51, v50, s52                             // 000000006EEC: D1ED00D2 00D26533
	v_cmp_u_f32_e64 s[48:49], v214, v214                       // 000000006EF4: D0480030 0003ADD6
	v_add3_u32 v44, v214, v47, 1                               // 000000006EFC: D1FF002C 02065FD6
	v_cndmask_b32_e64 v50, v44, v46, s[48:49]                  // 000000006F04: D1000032 00C25D2C
	v_cmp_u_f32_e64 s[48:49], v215, v215                       // 000000006F0C: D0480030 0003AFD7
	v_add3_u32 v44, v215, v47, 1                               // 000000006F14: D1FF002C 02065FD7
	v_cndmask_b32_e64 v51, v44, v46, s[48:49]                  // 000000006F1C: D1000033 00C25D2C
	v_perm_b32 v211, v51, v50, s52                             // 000000006F24: D1ED00D3 00D26533
	v_cmp_u_f32_e64 s[48:49], v216, v216                       // 000000006F2C: D0480030 0003B1D8
	v_add3_u32 v44, v216, v47, 1                               // 000000006F34: D1FF002C 02065FD8
	v_cndmask_b32_e64 v50, v44, v46, s[48:49]                  // 000000006F3C: D1000032 00C25D2C
	v_cmp_u_f32_e64 s[48:49], v217, v217                       // 000000006F44: D0480030 0003B3D9
	v_add3_u32 v44, v217, v47, 1                               // 000000006F4C: D1FF002C 02065FD9
	v_cndmask_b32_e64 v51, v44, v46, s[48:49]                  // 000000006F54: D1000033 00C25D2C
	v_perm_b32 v212, v51, v50, s52                             // 000000006F5C: D1ED00D4 00D26533
	v_cmp_u_f32_e64 s[48:49], v218, v218                       // 000000006F64: D0480030 0003B5DA
	v_add3_u32 v44, v218, v47, 1                               // 000000006F6C: D1FF002C 02065FDA
	v_cndmask_b32_e64 v50, v44, v46, s[48:49]                  // 000000006F74: D1000032 00C25D2C
	v_cmp_u_f32_e64 s[48:49], v219, v219                       // 000000006F7C: D0480030 0003B7DB
	v_add3_u32 v44, v219, v47, 1                               // 000000006F84: D1FF002C 02065FDB
	v_cndmask_b32_e64 v51, v44, v46, s[48:49]                  // 000000006F8C: D1000033 00C25D2C
	v_perm_b32 v213, v51, v50, s52                             // 000000006F94: D1ED00D5 00D26533
	v_cmp_u_f32_e64 s[48:49], v220, v220                       // 000000006F9C: D0480030 0003B9DC
	v_add3_u32 v44, v220, v47, 1                               // 000000006FA4: D1FF002C 02065FDC
	v_cndmask_b32_e64 v50, v44, v46, s[48:49]                  // 000000006FAC: D1000032 00C25D2C
	v_cmp_u_f32_e64 s[48:49], v221, v221                       // 000000006FB4: D0480030 0003BBDD
	v_add3_u32 v44, v221, v47, 1                               // 000000006FBC: D1FF002C 02065FDD
	v_cndmask_b32_e64 v51, v44, v46, s[48:49]                  // 000000006FC4: D1000033 00C25D2C
	v_perm_b32 v214, v51, v50, s52                             // 000000006FCC: D1ED00D6 00D26533
	v_cmp_u_f32_e64 s[48:49], v222, v222                       // 000000006FD4: D0480030 0003BDDE
	v_add3_u32 v44, v222, v47, 1                               // 000000006FDC: D1FF002C 02065FDE
	v_cndmask_b32_e64 v50, v44, v46, s[48:49]                  // 000000006FE4: D1000032 00C25D2C
	v_cmp_u_f32_e64 s[48:49], v223, v223                       // 000000006FEC: D0480030 0003BFDF
	v_add3_u32 v44, v223, v47, 1                               // 000000006FF4: D1FF002C 02065FDF
	v_cndmask_b32_e64 v51, v44, v46, s[48:49]                  // 000000006FFC: D1000033 00C25D2C
	v_perm_b32 v215, v51, v50, s52                             // 000000007004: D1ED00D7 00D26533
	v_cmp_u_f32_e64 s[48:49], v224, v224                       // 00000000700C: D0480030 0003C1E0
	v_add3_u32 v44, v224, v47, 1                               // 000000007014: D1FF002C 02065FE0
	v_cndmask_b32_e64 v50, v44, v46, s[48:49]                  // 00000000701C: D1000032 00C25D2C
	v_cmp_u_f32_e64 s[48:49], v225, v225                       // 000000007024: D0480030 0003C3E1
	v_add3_u32 v44, v225, v47, 1                               // 00000000702C: D1FF002C 02065FE1
	v_cndmask_b32_e64 v51, v44, v46, s[48:49]                  // 000000007034: D1000033 00C25D2C
	v_perm_b32 v216, v51, v50, s52                             // 00000000703C: D1ED00D8 00D26533
	v_cmp_u_f32_e64 s[48:49], v226, v226                       // 000000007044: D0480030 0003C5E2
	v_add3_u32 v44, v226, v47, 1                               // 00000000704C: D1FF002C 02065FE2
	v_cndmask_b32_e64 v50, v44, v46, s[48:49]                  // 000000007054: D1000032 00C25D2C
	v_cmp_u_f32_e64 s[48:49], v227, v227                       // 00000000705C: D0480030 0003C7E3
	v_add3_u32 v44, v227, v47, 1                               // 000000007064: D1FF002C 02065FE3
	v_cndmask_b32_e64 v51, v44, v46, s[48:49]                  // 00000000706C: D1000033 00C25D2C
	v_perm_b32 v217, v51, v50, s52                             // 000000007074: D1ED00D9 00D26533
	v_cmp_u_f32_e64 s[48:49], v228, v228                       // 00000000707C: D0480030 0003C9E4
	v_add3_u32 v44, v228, v47, 1                               // 000000007084: D1FF002C 02065FE4
	v_cndmask_b32_e64 v50, v44, v46, s[48:49]                  // 00000000708C: D1000032 00C25D2C
	v_cmp_u_f32_e64 s[48:49], v229, v229                       // 000000007094: D0480030 0003CBE5
	v_add3_u32 v44, v229, v47, 1                               // 00000000709C: D1FF002C 02065FE5
	v_cndmask_b32_e64 v51, v44, v46, s[48:49]                  // 0000000070A4: D1000033 00C25D2C
	v_perm_b32 v218, v51, v50, s52                             // 0000000070AC: D1ED00DA 00D26533
	v_cmp_u_f32_e64 s[48:49], v230, v230                       // 0000000070B4: D0480030 0003CDE6
	v_add3_u32 v44, v230, v47, 1                               // 0000000070BC: D1FF002C 02065FE6
	v_cndmask_b32_e64 v50, v44, v46, s[48:49]                  // 0000000070C4: D1000032 00C25D2C
	v_cmp_u_f32_e64 s[48:49], v231, v231                       // 0000000070CC: D0480030 0003CFE7
	v_add3_u32 v44, v231, v47, 1                               // 0000000070D4: D1FF002C 02065FE7
	v_cndmask_b32_e64 v51, v44, v46, s[48:49]                  // 0000000070DC: D1000033 00C25D2C
	v_perm_b32 v219, v51, v50, s52                             // 0000000070E4: D1ED00DB 00D26533
	v_cmp_u_f32_e64 s[48:49], v232, v232                       // 0000000070EC: D0480030 0003D1E8
	v_add3_u32 v44, v232, v47, 1                               // 0000000070F4: D1FF002C 02065FE8
	v_cndmask_b32_e64 v50, v44, v46, s[48:49]                  // 0000000070FC: D1000032 00C25D2C
	v_cmp_u_f32_e64 s[48:49], v233, v233                       // 000000007104: D0480030 0003D3E9
	v_add3_u32 v44, v233, v47, 1                               // 00000000710C: D1FF002C 02065FE9
	v_cndmask_b32_e64 v51, v44, v46, s[48:49]                  // 000000007114: D1000033 00C25D2C
	v_perm_b32 v220, v51, v50, s52                             // 00000000711C: D1ED00DC 00D26533
	v_cmp_u_f32_e64 s[48:49], v234, v234                       // 000000007124: D0480030 0003D5EA
	v_add3_u32 v44, v234, v47, 1                               // 00000000712C: D1FF002C 02065FEA
	v_cndmask_b32_e64 v50, v44, v46, s[48:49]                  // 000000007134: D1000032 00C25D2C
	v_cmp_u_f32_e64 s[48:49], v235, v235                       // 00000000713C: D0480030 0003D7EB
	v_add3_u32 v44, v235, v47, 1                               // 000000007144: D1FF002C 02065FEB
	v_cndmask_b32_e64 v51, v44, v46, s[48:49]                  // 00000000714C: D1000033 00C25D2C
	v_perm_b32 v221, v51, v50, s52                             // 000000007154: D1ED00DD 00D26533
	v_cmp_u_f32_e64 s[48:49], v236, v236                       // 00000000715C: D0480030 0003D9EC
	v_add3_u32 v44, v236, v47, 1                               // 000000007164: D1FF002C 02065FEC
	v_cndmask_b32_e64 v50, v44, v46, s[48:49]                  // 00000000716C: D1000032 00C25D2C
	v_cmp_u_f32_e64 s[48:49], v237, v237                       // 000000007174: D0480030 0003DBED
	v_add3_u32 v44, v237, v47, 1                               // 00000000717C: D1FF002C 02065FED
	v_cndmask_b32_e64 v51, v44, v46, s[48:49]                  // 000000007184: D1000033 00C25D2C
	v_perm_b32 v222, v51, v50, s52                             // 00000000718C: D1ED00DE 00D26533
	v_cmp_u_f32_e64 s[48:49], v238, v238                       // 000000007194: D0480030 0003DDEE
	v_add3_u32 v44, v238, v47, 1                               // 00000000719C: D1FF002C 02065FEE
	v_cndmask_b32_e64 v50, v44, v46, s[48:49]                  // 0000000071A4: D1000032 00C25D2C
	v_cmp_u_f32_e64 s[48:49], v239, v239                       // 0000000071AC: D0480030 0003DFEF
	v_add3_u32 v44, v239, v47, 1                               // 0000000071B4: D1FF002C 02065FEF
	v_cndmask_b32_e64 v51, v44, v46, s[48:49]                  // 0000000071BC: D1000033 00C25D2C
	v_perm_b32 v223, v51, v50, s52                             // 0000000071C4: D1ED00DF 00D26533
	ds_write_b64 v3, v[208:209] offset:30976                   // 0000000071CC: D89A7900 0000D003
	ds_write_b64 v3, v[210:211] offset:39680                   // 0000000071D4: D89A9B00 0000D203
	ds_write_b64 v3, v[212:213] offset:33152                   // 0000000071DC: D89A8180 0000D403
	ds_write_b64 v3, v[214:215] offset:41856                   // 0000000071E4: D89AA380 0000D603
	ds_write_b64 v3, v[216:217] offset:35328                   // 0000000071EC: D89A8A00 0000D803
	ds_write_b64 v3, v[218:219] offset:44032                   // 0000000071F4: D89AAC00 0000DA03
	ds_write_b64 v3, v[220:221] offset:37504                   // 0000000071FC: D89A9280 0000DC03
	ds_write_b64 v3, v[222:223] offset:46208                   // 000000007204: D89AB480 0000DE03
	s_waitcnt lgkmcnt(0)                                       // 00000000720C: BF8CC07F
	s_barrier                                                  // 000000007210: BF8A0000
	ds_read_b32 v64, v4 offset:30976                           // 000000007214: D86C7900 40000004
	ds_read_b32 v65, v4 offset:35328                           // 00000000721C: D86C8A00 41000004
	ds_read_b32 v66, v4 offset:31008                           // 000000007224: D86C7920 42000004
	ds_read_b32 v67, v4 offset:35360                           // 00000000722C: D86C8A20 43000004
	ds_read_b32 v68, v4 offset:31040                           // 000000007234: D86C7940 44000004
	ds_read_b32 v69, v4 offset:35392                           // 00000000723C: D86C8A40 45000004
	ds_read_b32 v70, v4 offset:31072                           // 000000007244: D86C7960 46000004
	ds_read_b32 v71, v4 offset:35424                           // 00000000724C: D86C8A60 47000004
	ds_read_b32 v72, v4 offset:39680                           // 000000007254: D86C9B00 48000004
	ds_read_b32 v73, v4 offset:44032                           // 00000000725C: D86CAC00 49000004
	ds_read_b32 v74, v4 offset:39712                           // 000000007264: D86C9B20 4A000004
	ds_read_b32 v75, v4 offset:44064                           // 00000000726C: D86CAC20 4B000004
	ds_read_b32 v76, v4 offset:39744                           // 000000007274: D86C9B40 4C000004
	ds_read_b32 v77, v4 offset:44096                           // 00000000727C: D86CAC40 4D000004
	ds_read_b32 v78, v4 offset:39776                           // 000000007284: D86C9B60 4E000004
	ds_read_b32 v79, v4 offset:44128                           // 00000000728C: D86CAC60 4F000004
	s_waitcnt lgkmcnt(0)                                       // 000000007294: BF8CC07F
	s_mov_b64 exec, s[20:21]                                   // 000000007298: BEFE0114
	global_atomic_pk_add_bf16 v80, v64, s[8:9]                 // 00000000729C: DD488000 00084050
	s_mov_b64 exec, s[36:37]                                   // 0000000072A4: BEFE0124
	s_mov_b64 exec, s[20:21]                                   // 0000000072A8: BEFE0114
	global_atomic_pk_add_bf16 v80, v65, s[8:9] offset:256      // 0000000072AC: DD488100 00084150
	s_mov_b64 exec, s[36:37]                                   // 0000000072B4: BEFE0124
	s_mov_b64 exec, s[22:23]                                   // 0000000072B8: BEFE0116
	global_atomic_pk_add_bf16 v82, v66, s[8:9]                 // 0000000072BC: DD488000 00084252
	s_mov_b64 exec, s[36:37]                                   // 0000000072C4: BEFE0124
	s_mov_b64 exec, s[22:23]                                   // 0000000072C8: BEFE0116
	global_atomic_pk_add_bf16 v82, v67, s[8:9] offset:256      // 0000000072CC: DD488100 00084352
	s_mov_b64 exec, s[36:37]                                   // 0000000072D4: BEFE0124
	s_mov_b64 exec, s[24:25]                                   // 0000000072D8: BEFE0118
	global_atomic_pk_add_bf16 v84, v68, s[8:9]                 // 0000000072DC: DD488000 00084454
	s_mov_b64 exec, s[36:37]                                   // 0000000072E4: BEFE0124
	s_mov_b64 exec, s[24:25]                                   // 0000000072E8: BEFE0118
	global_atomic_pk_add_bf16 v84, v69, s[8:9] offset:256      // 0000000072EC: DD488100 00084554
	s_mov_b64 exec, s[36:37]                                   // 0000000072F4: BEFE0124
	s_mov_b64 exec, s[26:27]                                   // 0000000072F8: BEFE011A
	global_atomic_pk_add_bf16 v86, v70, s[8:9]                 // 0000000072FC: DD488000 00084656
	s_mov_b64 exec, s[36:37]                                   // 000000007304: BEFE0124
	s_mov_b64 exec, s[26:27]                                   // 000000007308: BEFE011A
	global_atomic_pk_add_bf16 v86, v71, s[8:9] offset:256      // 00000000730C: DD488100 00084756
	s_mov_b64 exec, s[36:37]                                   // 000000007314: BEFE0124
	s_mov_b64 exec, s[28:29]                                   // 000000007318: BEFE011C
	global_atomic_pk_add_bf16 v88, v72, s[8:9]                 // 00000000731C: DD488000 00084858
	s_mov_b64 exec, s[36:37]                                   // 000000007324: BEFE0124
	s_mov_b64 exec, s[28:29]                                   // 000000007328: BEFE011C
	global_atomic_pk_add_bf16 v88, v73, s[8:9] offset:256      // 00000000732C: DD488100 00084958
	s_mov_b64 exec, s[36:37]                                   // 000000007334: BEFE0124
	s_mov_b64 exec, s[30:31]                                   // 000000007338: BEFE011E
	global_atomic_pk_add_bf16 v90, v74, s[8:9]                 // 00000000733C: DD488000 00084A5A
	s_mov_b64 exec, s[36:37]                                   // 000000007344: BEFE0124
	s_mov_b64 exec, s[30:31]                                   // 000000007348: BEFE011E
	global_atomic_pk_add_bf16 v90, v75, s[8:9] offset:256      // 00000000734C: DD488100 00084B5A
	s_mov_b64 exec, s[36:37]                                   // 000000007354: BEFE0124
	s_mov_b64 exec, s[32:33]                                   // 000000007358: BEFE0120
	global_atomic_pk_add_bf16 v92, v76, s[8:9]                 // 00000000735C: DD488000 00084C5C
	s_mov_b64 exec, s[36:37]                                   // 000000007364: BEFE0124
	s_mov_b64 exec, s[32:33]                                   // 000000007368: BEFE0120
	global_atomic_pk_add_bf16 v92, v77, s[8:9] offset:256      // 00000000736C: DD488100 00084D5C
	s_mov_b64 exec, s[36:37]                                   // 000000007374: BEFE0124
	s_mov_b64 exec, s[34:35]                                   // 000000007378: BEFE0122
	global_atomic_pk_add_bf16 v94, v78, s[8:9]                 // 00000000737C: DD488000 00084E5E
	s_mov_b64 exec, s[36:37]                                   // 000000007384: BEFE0124
	s_mov_b64 exec, s[34:35]                                   // 000000007388: BEFE0122
	global_atomic_pk_add_bf16 v94, v79, s[8:9] offset:256      // 00000000738C: DD488100 00084F5E
	s_mov_b64 exec, s[36:37]                                   // 000000007394: BEFE0124
	s_add_u32 s8, s59, s8                                      // 000000007398: 8008083B
	s_addc_u32 s9, 0, s9                                       // 00000000739C: 82090980
	s_addk_i32 s80, 0x100                                      // 0000000073A0: B7500100
	s_cmp_lt_i32 s80, s81                                      // 0000000073A4: BF045150
	s_cbranch_scc0 label_116C                                  // 0000000073A8: BF840001
	s_branch label_0BE1                                        // 0000000073AC: BF82FA75

00000000000073b0 <label_116C>:
	s_nop 0                                                    // 0000000073B0: BF800000
	s_nop 0                                                    // 0000000073B4: BF800000
	s_branch label_2013                                        // 0000000073B8: BF820EA4

00000000000073bc <label_116F>:
	s_waitcnt vmcnt(16) lgkmcnt(0)                             // 0000000073BC: BF8C4070
	s_barrier                                                  // 0000000073C0: BF8A0000
	v_mfma_f32_16x16x32_fp8_fp8 v[128:131], a[0:1], v[176:177], v[128:131]// 0000000073C4: D3F30080 0E036100
	buffer_load_dwordx4 a[96:99], v34, s[92:95], 0 offen       // 0000000073CC: E05C1000 80976022
	v_mfma_f32_16x16x32_fp8_fp8 v[128:131], a[2:3], v[178:179], v[128:131]// 0000000073D4: D3F30080 0E036502
	v_mfma_f32_16x16x32_fp8_fp8 v[128:131], a[4:5], v[180:181], v[128:131]// 0000000073DC: D3F30080 0E036904
	buffer_load_dword v26, s[20:23], 0 offen lds               // 0000000073E4: E0511000 8005001A
	s_add_u32 m0, 0x100, s51                                   // 0000000073EC: 807C33FF 00000100
	v_mfma_f32_16x16x32_fp8_fp8 v[128:131], a[6:7], v[182:183], v[128:131]// 0000000073F4: D3F30080 0E036D06
	v_mfma_f32_16x16x32_fp8_fp8 v[128:131], a[8:9], v[184:185], v[128:131]// 0000000073FC: D3F30080 0E037108
	buffer_load_dwordx4 a[100:103], v34, s[92:95], 0 offen offset:1024// 000000007404: E05C1400 80976422
	v_mfma_f32_16x16x32_fp8_fp8 v[128:131], a[10:11], v[186:187], v[128:131]// 00000000740C: D3F30080 0E03750A
	v_mfma_f32_16x16x32_fp8_fp8 v[128:131], a[12:13], v[188:189], v[128:131]// 000000007414: D3F30080 0E03790C
	buffer_load_dword v27, s[20:23], 0 offen lds               // 00000000741C: E0511000 8005001B
	s_add_u32 m0, 0x200, s51                                   // 000000007424: 807C33FF 00000200
	v_mfma_f32_16x16x32_fp8_fp8 v[128:131], a[14:15], v[190:191], v[128:131]// 00000000742C: D3F30080 0E037D0E
	v_mfma_f32_16x16x32_fp8_fp8 v[132:135], a[0:1], v[192:193], v[132:135]// 000000007434: D3F30084 0E138100
	buffer_load_dwordx4 a[104:107], v34, s[92:95], 0 offen offset:2048// 00000000743C: E05C1800 80976822
	v_mfma_f32_16x16x32_fp8_fp8 v[132:135], a[2:3], v[194:195], v[132:135]// 000000007444: D3F30084 0E138502
	v_mfma_f32_16x16x32_fp8_fp8 v[132:135], a[4:5], v[196:197], v[132:135]// 00000000744C: D3F30084 0E138904
	buffer_load_dword v28, s[20:23], 0 offen lds               // 000000007454: E0511000 8005001C
	s_add_u32 m0, 0x300, s51                                   // 00000000745C: 807C33FF 00000300
	v_mfma_f32_16x16x32_fp8_fp8 v[132:135], a[6:7], v[198:199], v[132:135]// 000000007464: D3F30084 0E138D06
	v_mfma_f32_16x16x32_fp8_fp8 v[132:135], a[8:9], v[200:201], v[132:135]// 00000000746C: D3F30084 0E139108
	buffer_load_dwordx4 a[108:111], v34, s[92:95], 0 offen offset:3072// 000000007474: E05C1C00 80976C22
	v_mfma_f32_16x16x32_fp8_fp8 v[132:135], a[10:11], v[202:203], v[132:135]// 00000000747C: D3F30084 0E13950A
	v_mfma_f32_16x16x32_fp8_fp8 v[132:135], a[12:13], v[204:205], v[132:135]// 000000007484: D3F30084 0E13990C
	buffer_load_dword v29, s[20:23], 0 offen lds               // 00000000748C: E0511000 8005001D
	s_add_u32 m0, 0x400, s51                                   // 000000007494: 807C33FF 00000400
	v_mfma_f32_16x16x32_fp8_fp8 v[132:135], a[14:15], v[206:207], v[132:135]// 00000000749C: D3F30084 0E139D0E
	v_mfma_f32_16x16x32_fp8_fp8 v[136:139], a[16:17], v[176:177], v[136:139]// 0000000074A4: D3F30088 0E236110
	buffer_load_dwordx4 a[112:115], v35, s[92:95], 0 offen     // 0000000074AC: E05C1000 80977023
	v_mfma_f32_16x16x32_fp8_fp8 v[136:139], a[18:19], v[178:179], v[136:139]// 0000000074B4: D3F30088 0E236512
	v_mfma_f32_16x16x32_fp8_fp8 v[136:139], a[20:21], v[180:181], v[136:139]// 0000000074BC: D3F30088 0E236914
	buffer_load_dword v30, s[20:23], 0 offen lds               // 0000000074C4: E0511000 8005001E
	s_add_u32 m0, 0x500, s51                                   // 0000000074CC: 807C33FF 00000500
	v_mfma_f32_16x16x32_fp8_fp8 v[136:139], a[22:23], v[182:183], v[136:139]// 0000000074D4: D3F30088 0E236D16
	v_mfma_f32_16x16x32_fp8_fp8 v[136:139], a[24:25], v[184:185], v[136:139]// 0000000074DC: D3F30088 0E237118
	buffer_load_dwordx4 a[116:119], v35, s[92:95], 0 offen offset:1024// 0000000074E4: E05C1400 80977423
	v_mfma_f32_16x16x32_fp8_fp8 v[136:139], a[26:27], v[186:187], v[136:139]// 0000000074EC: D3F30088 0E23751A
	v_mfma_f32_16x16x32_fp8_fp8 v[136:139], a[28:29], v[188:189], v[136:139]// 0000000074F4: D3F30088 0E23791C
	buffer_load_dword v31, s[20:23], 0 offen lds               // 0000000074FC: E0511000 8005001F
	s_add_u32 m0, 0x600, s51                                   // 000000007504: 807C33FF 00000600
	v_mfma_f32_16x16x32_fp8_fp8 v[136:139], a[30:31], v[190:191], v[136:139]// 00000000750C: D3F30088 0E237D1E
	v_mfma_f32_16x16x32_fp8_fp8 v[140:143], a[16:17], v[192:193], v[140:143]// 000000007514: D3F3008C 0E338110
	buffer_load_dwordx4 a[120:123], v35, s[92:95], 0 offen offset:2048// 00000000751C: E05C1800 80977823
	v_mfma_f32_16x16x32_fp8_fp8 v[140:143], a[18:19], v[194:195], v[140:143]// 000000007524: D3F3008C 0E338512
	v_mfma_f32_16x16x32_fp8_fp8 v[140:143], a[20:21], v[196:197], v[140:143]// 00000000752C: D3F3008C 0E338914
	buffer_load_dword v32, s[20:23], 0 offen lds               // 000000007534: E0511000 80050020
	s_add_u32 m0, 0x700, s51                                   // 00000000753C: 807C33FF 00000700
	v_mfma_f32_16x16x32_fp8_fp8 v[140:143], a[22:23], v[198:199], v[140:143]// 000000007544: D3F3008C 0E338D16
	v_mfma_f32_16x16x32_fp8_fp8 v[140:143], a[24:25], v[200:201], v[140:143]// 00000000754C: D3F3008C 0E339118
	buffer_load_dwordx4 a[124:127], v35, s[92:95], 0 offen offset:3072// 000000007554: E05C1C00 80977C23
	v_mfma_f32_16x16x32_fp8_fp8 v[140:143], a[26:27], v[202:203], v[140:143]// 00000000755C: D3F3008C 0E33951A
	v_mfma_f32_16x16x32_fp8_fp8 v[140:143], a[28:29], v[204:205], v[140:143]// 000000007564: D3F3008C 0E33991C
	buffer_load_dword v33, s[20:23], 0 offen lds               // 00000000756C: E0511000 80050021
	s_add_u32 m0, 0, s50                                       // 000000007574: 807C3280
	v_mfma_f32_16x16x32_fp8_fp8 v[140:143], a[30:31], v[206:207], v[140:143]// 000000007578: D3F3008C 0E339D1E
	s_waitcnt vmcnt(28)                                        // 000000007580: BF8C4F7C
	v_mfma_f32_16x16x32_fp8_fp8 v[144:147], a[32:33], v[176:177], v[144:147]// 000000007584: D3F30090 0E436120
	buffer_load_dwordx4 a[128:131], v36, s[92:95], 0 offen     // 00000000758C: E05C1000 80978024
	v_mfma_f32_16x16x32_fp8_fp8 v[144:147], a[34:35], v[178:179], v[144:147]// 000000007594: D3F30090 0E436522
	v_mfma_f32_16x16x32_fp8_fp8 v[144:147], a[36:37], v[180:181], v[144:147]// 00000000759C: D3F30090 0E436924
	v_mfma_f32_16x16x32_fp8_fp8 v[144:147], a[38:39], v[182:183], v[144:147]// 0000000075A4: D3F30090 0E436D26
	v_mfma_f32_16x16x32_fp8_fp8 v[144:147], a[40:41], v[184:185], v[144:147]// 0000000075AC: D3F30090 0E437128
	buffer_load_dwordx4 a[132:135], v36, s[92:95], 0 offen offset:1024// 0000000075B4: E05C1400 80978424
	v_mfma_f32_16x16x32_fp8_fp8 v[144:147], a[42:43], v[186:187], v[144:147]// 0000000075BC: D3F30090 0E43752A
	v_mfma_f32_16x16x32_fp8_fp8 v[144:147], a[44:45], v[188:189], v[144:147]// 0000000075C4: D3F30090 0E43792C
	v_mfma_f32_16x16x32_fp8_fp8 v[144:147], a[46:47], v[190:191], v[144:147]// 0000000075CC: D3F30090 0E437D2E
	v_mfma_f32_16x16x32_fp8_fp8 v[148:151], a[32:33], v[192:193], v[148:151]// 0000000075D4: D3F30094 0E538120
	buffer_load_dwordx4 a[136:139], v36, s[92:95], 0 offen offset:2048// 0000000075DC: E05C1800 80978824
	v_mfma_f32_16x16x32_fp8_fp8 v[148:151], a[34:35], v[194:195], v[148:151]// 0000000075E4: D3F30094 0E538522
	v_mfma_f32_16x16x32_fp8_fp8 v[148:151], a[36:37], v[196:197], v[148:151]// 0000000075EC: D3F30094 0E538924
	v_mfma_f32_16x16x32_fp8_fp8 v[148:151], a[38:39], v[198:199], v[148:151]// 0000000075F4: D3F30094 0E538D26
	v_mfma_f32_16x16x32_fp8_fp8 v[148:151], a[40:41], v[200:201], v[148:151]// 0000000075FC: D3F30094 0E539128
	buffer_load_dwordx4 a[140:143], v36, s[92:95], 0 offen offset:3072// 000000007604: E05C1C00 80978C24
	v_mfma_f32_16x16x32_fp8_fp8 v[148:151], a[42:43], v[202:203], v[148:151]// 00000000760C: D3F30094 0E53952A
	v_mfma_f32_16x16x32_fp8_fp8 v[148:151], a[44:45], v[204:205], v[148:151]// 000000007614: D3F30094 0E53992C
	v_mfma_f32_16x16x32_fp8_fp8 v[148:151], a[46:47], v[206:207], v[148:151]// 00000000761C: D3F30094 0E539D2E
	s_waitcnt vmcnt(28)                                        // 000000007624: BF8C4F7C
	v_mfma_f32_16x16x32_fp8_fp8 v[152:155], a[48:49], v[176:177], v[152:155]// 000000007628: D3F30098 0E636130
	buffer_load_dwordx4 a[144:147], v37, s[92:95], 0 offen     // 000000007630: E05C1000 80979025
	v_mfma_f32_16x16x32_fp8_fp8 v[152:155], a[50:51], v[178:179], v[152:155]// 000000007638: D3F30098 0E636532
	v_mfma_f32_16x16x32_fp8_fp8 v[152:155], a[52:53], v[180:181], v[152:155]// 000000007640: D3F30098 0E636934
	v_mfma_f32_16x16x32_fp8_fp8 v[152:155], a[54:55], v[182:183], v[152:155]// 000000007648: D3F30098 0E636D36
	v_mfma_f32_16x16x32_fp8_fp8 v[152:155], a[56:57], v[184:185], v[152:155]// 000000007650: D3F30098 0E637138
	buffer_load_dwordx4 a[148:151], v37, s[92:95], 0 offen offset:1024// 000000007658: E05C1400 80979425
	v_mfma_f32_16x16x32_fp8_fp8 v[152:155], a[58:59], v[186:187], v[152:155]// 000000007660: D3F30098 0E63753A
	v_mfma_f32_16x16x32_fp8_fp8 v[152:155], a[60:61], v[188:189], v[152:155]// 000000007668: D3F30098 0E63793C
	v_mfma_f32_16x16x32_fp8_fp8 v[152:155], a[62:63], v[190:191], v[152:155]// 000000007670: D3F30098 0E637D3E
	v_mfma_f32_16x16x32_fp8_fp8 v[156:159], a[48:49], v[192:193], v[156:159]// 000000007678: D3F3009C 0E738130
	buffer_load_dwordx4 a[152:155], v37, s[92:95], 0 offen offset:2048// 000000007680: E05C1800 80979825
	v_mfma_f32_16x16x32_fp8_fp8 v[156:159], a[50:51], v[194:195], v[156:159]// 000000007688: D3F3009C 0E738532
	v_mfma_f32_16x16x32_fp8_fp8 v[156:159], a[52:53], v[196:197], v[156:159]// 000000007690: D3F3009C 0E738934
	v_mfma_f32_16x16x32_fp8_fp8 v[156:159], a[54:55], v[198:199], v[156:159]// 000000007698: D3F3009C 0E738D36
	v_mfma_f32_16x16x32_fp8_fp8 v[156:159], a[56:57], v[200:201], v[156:159]// 0000000076A0: D3F3009C 0E739138
	buffer_load_dwordx4 a[156:159], v37, s[92:95], 0 offen offset:3072// 0000000076A8: E05C1C00 80979C25
	v_mfma_f32_16x16x32_fp8_fp8 v[156:159], a[58:59], v[202:203], v[156:159]// 0000000076B0: D3F3009C 0E73953A
	v_mfma_f32_16x16x32_fp8_fp8 v[156:159], a[60:61], v[204:205], v[156:159]// 0000000076B8: D3F3009C 0E73993C
	v_mfma_f32_16x16x32_fp8_fp8 v[156:159], a[62:63], v[206:207], v[156:159]// 0000000076C0: D3F3009C 0E739D3E
	s_waitcnt vmcnt(28)                                        // 0000000076C8: BF8C4F7C
	v_mfma_f32_16x16x32_fp8_fp8 v[160:163], a[64:65], v[176:177], v[160:163]// 0000000076CC: D3F300A0 0E836140
	buffer_load_dwordx4 a[160:163], v38, s[92:95], 0 offen     // 0000000076D4: E05C1000 8097A026
	v_mfma_f32_16x16x32_fp8_fp8 v[160:163], a[66:67], v[178:179], v[160:163]// 0000000076DC: D3F300A0 0E836542
	v_mfma_f32_16x16x32_fp8_fp8 v[160:163], a[68:69], v[180:181], v[160:163]// 0000000076E4: D3F300A0 0E836944
	v_mfma_f32_16x16x32_fp8_fp8 v[160:163], a[70:71], v[182:183], v[160:163]// 0000000076EC: D3F300A0 0E836D46
	v_mfma_f32_16x16x32_fp8_fp8 v[160:163], a[72:73], v[184:185], v[160:163]// 0000000076F4: D3F300A0 0E837148
	buffer_load_dwordx4 a[164:167], v38, s[92:95], 0 offen offset:1024// 0000000076FC: E05C1400 8097A426
	v_mfma_f32_16x16x32_fp8_fp8 v[160:163], a[74:75], v[186:187], v[160:163]// 000000007704: D3F300A0 0E83754A
	v_mfma_f32_16x16x32_fp8_fp8 v[160:163], a[76:77], v[188:189], v[160:163]// 00000000770C: D3F300A0 0E83794C
	v_mfma_f32_16x16x32_fp8_fp8 v[160:163], a[78:79], v[190:191], v[160:163]// 000000007714: D3F300A0 0E837D4E
	v_mfma_f32_16x16x32_fp8_fp8 v[164:167], a[64:65], v[192:193], v[164:167]// 00000000771C: D3F300A4 0E938140
	buffer_load_dwordx4 a[168:171], v38, s[92:95], 0 offen offset:2048// 000000007724: E05C1800 8097A826
	v_mfma_f32_16x16x32_fp8_fp8 v[164:167], a[66:67], v[194:195], v[164:167]// 00000000772C: D3F300A4 0E938542
	v_mfma_f32_16x16x32_fp8_fp8 v[164:167], a[68:69], v[196:197], v[164:167]// 000000007734: D3F300A4 0E938944
	v_mfma_f32_16x16x32_fp8_fp8 v[164:167], a[70:71], v[198:199], v[164:167]// 00000000773C: D3F300A4 0E938D46
	v_mfma_f32_16x16x32_fp8_fp8 v[164:167], a[72:73], v[200:201], v[164:167]// 000000007744: D3F300A4 0E939148
	buffer_load_dwordx4 a[172:175], v38, s[92:95], 0 offen offset:3072// 00000000774C: E05C1C00 8097AC26
	v_mfma_f32_16x16x32_fp8_fp8 v[164:167], a[74:75], v[202:203], v[164:167]// 000000007754: D3F300A4 0E93954A
	v_mfma_f32_16x16x32_fp8_fp8 v[164:167], a[76:77], v[204:205], v[164:167]// 00000000775C: D3F300A4 0E93994C
	v_mfma_f32_16x16x32_fp8_fp8 v[164:167], a[78:79], v[206:207], v[164:167]// 000000007764: D3F300A4 0E939D4E
	s_waitcnt vmcnt(28)                                        // 00000000776C: BF8C4F7C
	v_mfma_f32_16x16x32_fp8_fp8 v[168:171], a[80:81], v[176:177], v[168:171]// 000000007770: D3F300A8 0EA36150
	buffer_load_dwordx4 a[176:179], v39, s[92:95], 0 offen     // 000000007778: E05C1000 8097B027
	v_mfma_f32_16x16x32_fp8_fp8 v[168:171], a[82:83], v[178:179], v[168:171]// 000000007780: D3F300A8 0EA36552
	v_mfma_f32_16x16x32_fp8_fp8 v[168:171], a[84:85], v[180:181], v[168:171]// 000000007788: D3F300A8 0EA36954
	v_mfma_f32_16x16x32_fp8_fp8 v[168:171], a[86:87], v[182:183], v[168:171]// 000000007790: D3F300A8 0EA36D56
	v_mfma_f32_16x16x32_fp8_fp8 v[168:171], a[88:89], v[184:185], v[168:171]// 000000007798: D3F300A8 0EA37158
	buffer_load_dwordx4 a[180:183], v39, s[92:95], 0 offen offset:1024// 0000000077A0: E05C1400 8097B427
	v_mfma_f32_16x16x32_fp8_fp8 v[168:171], a[90:91], v[186:187], v[168:171]// 0000000077A8: D3F300A8 0EA3755A
	v_mfma_f32_16x16x32_fp8_fp8 v[168:171], a[92:93], v[188:189], v[168:171]// 0000000077B0: D3F300A8 0EA3795C
	v_mfma_f32_16x16x32_fp8_fp8 v[168:171], a[94:95], v[190:191], v[168:171]// 0000000077B8: D3F300A8 0EA37D5E
	v_mfma_f32_16x16x32_fp8_fp8 v[172:175], a[80:81], v[192:193], v[172:175]// 0000000077C0: D3F300AC 0EB38150
	buffer_load_dwordx4 a[184:187], v39, s[92:95], 0 offen offset:2048// 0000000077C8: E05C1800 8097B827
	v_mfma_f32_16x16x32_fp8_fp8 v[172:175], a[82:83], v[194:195], v[172:175]// 0000000077D0: D3F300AC 0EB38552
	v_mfma_f32_16x16x32_fp8_fp8 v[172:175], a[84:85], v[196:197], v[172:175]// 0000000077D8: D3F300AC 0EB38954
	v_mfma_f32_16x16x32_fp8_fp8 v[172:175], a[86:87], v[198:199], v[172:175]// 0000000077E0: D3F300AC 0EB38D56
	v_mfma_f32_16x16x32_fp8_fp8 v[172:175], a[88:89], v[200:201], v[172:175]// 0000000077E8: D3F300AC 0EB39158
	buffer_load_dwordx4 a[188:191], v39, s[92:95], 0 offen offset:3072// 0000000077F0: E05C1C00 8097BC27
	v_mfma_f32_16x16x32_fp8_fp8 v[172:175], a[90:91], v[202:203], v[172:175]// 0000000077F8: D3F300AC 0EB3955A
	v_mfma_f32_16x16x32_fp8_fp8 v[172:175], a[92:93], v[204:205], v[172:175]// 000000007800: D3F300AC 0EB3995C
	v_mfma_f32_16x16x32_fp8_fp8 v[172:175], a[94:95], v[206:207], v[172:175]// 000000007808: D3F300AC 0EB39D5E
	s_waitcnt vmcnt(16)                                        // 000000007810: BF8C4F70
	s_barrier                                                  // 000000007814: BF8A0000
	v_mfma_f32_16x16x32_fp8_fp8 v[64:67], a[96:97], v[176:177], v[64:67]// 000000007818: D3F30040 0D036160
	buffer_load_dwordx4 a[0:3], v34, s[24:27], 0 offen         // 000000007820: E05C1000 80860022
	v_mfma_f32_16x16x32_fp8_fp8 v[64:67], a[98:99], v[178:179], v[64:67]// 000000007828: D3F30040 0D036562
	v_mfma_f32_16x16x32_fp8_fp8 v[64:67], a[100:101], v[180:181], v[64:67]// 000000007830: D3F30040 0D036964
	v_mfma_f32_16x16x32_fp8_fp8 v[64:67], a[102:103], v[182:183], v[64:67]// 000000007838: D3F30040 0D036D66
	v_mfma_f32_16x16x32_fp8_fp8 v[64:67], a[104:105], v[184:185], v[64:67]// 000000007840: D3F30040 0D037168
	buffer_load_dwordx4 a[4:7], v34, s[24:27], 0 offen offset:1024// 000000007848: E05C1400 80860422
	v_mfma_f32_16x16x32_fp8_fp8 v[64:67], a[106:107], v[186:187], v[64:67]// 000000007850: D3F30040 0D03756A
	v_mfma_f32_16x16x32_fp8_fp8 v[64:67], a[108:109], v[188:189], v[64:67]// 000000007858: D3F30040 0D03796C
	v_mfma_f32_16x16x32_fp8_fp8 v[64:67], a[110:111], v[190:191], v[64:67]// 000000007860: D3F30040 0D037D6E
	v_mfma_f32_16x16x32_fp8_fp8 v[68:71], a[96:97], v[192:193], v[68:71]// 000000007868: D3F30044 0D138160
	buffer_load_dwordx4 a[8:11], v34, s[24:27], 0 offen offset:2048// 000000007870: E05C1800 80860822
	v_mfma_f32_16x16x32_fp8_fp8 v[68:71], a[98:99], v[194:195], v[68:71]// 000000007878: D3F30044 0D138562
	v_mfma_f32_16x16x32_fp8_fp8 v[68:71], a[100:101], v[196:197], v[68:71]// 000000007880: D3F30044 0D138964
	v_mfma_f32_16x16x32_fp8_fp8 v[68:71], a[102:103], v[198:199], v[68:71]// 000000007888: D3F30044 0D138D66
	v_mfma_f32_16x16x32_fp8_fp8 v[68:71], a[104:105], v[200:201], v[68:71]// 000000007890: D3F30044 0D139168
	buffer_load_dwordx4 a[12:15], v34, s[24:27], 0 offen offset:3072// 000000007898: E05C1C00 80860C22
	v_mfma_f32_16x16x32_fp8_fp8 v[68:71], a[106:107], v[202:203], v[68:71]// 0000000078A0: D3F30044 0D13956A
	v_mfma_f32_16x16x32_fp8_fp8 v[68:71], a[108:109], v[204:205], v[68:71]// 0000000078A8: D3F30044 0D13996C
	v_mfma_f32_16x16x32_fp8_fp8 v[68:71], a[110:111], v[206:207], v[68:71]// 0000000078B0: D3F30044 0D139D6E
	v_mfma_f32_16x16x32_fp8_fp8 v[72:75], a[112:113], v[176:177], v[72:75]// 0000000078B8: D3F30048 0D236170
	buffer_load_dwordx4 a[16:19], v35, s[24:27], 0 offen       // 0000000078C0: E05C1000 80861023
	v_mfma_f32_16x16x32_fp8_fp8 v[72:75], a[114:115], v[178:179], v[72:75]// 0000000078C8: D3F30048 0D236572
	v_mfma_f32_16x16x32_fp8_fp8 v[72:75], a[116:117], v[180:181], v[72:75]// 0000000078D0: D3F30048 0D236974
	v_mfma_f32_16x16x32_fp8_fp8 v[72:75], a[118:119], v[182:183], v[72:75]// 0000000078D8: D3F30048 0D236D76
	v_mfma_f32_16x16x32_fp8_fp8 v[72:75], a[120:121], v[184:185], v[72:75]// 0000000078E0: D3F30048 0D237178
	buffer_load_dwordx4 a[20:23], v35, s[24:27], 0 offen offset:1024// 0000000078E8: E05C1400 80861423
	v_mfma_f32_16x16x32_fp8_fp8 v[72:75], a[122:123], v[186:187], v[72:75]// 0000000078F0: D3F30048 0D23757A
	v_mfma_f32_16x16x32_fp8_fp8 v[72:75], a[124:125], v[188:189], v[72:75]// 0000000078F8: D3F30048 0D23797C
	v_mfma_f32_16x16x32_fp8_fp8 v[72:75], a[126:127], v[190:191], v[72:75]// 000000007900: D3F30048 0D237D7E
	v_mfma_f32_16x16x32_fp8_fp8 v[76:79], a[112:113], v[192:193], v[76:79]// 000000007908: D3F3004C 0D338170
	buffer_load_dwordx4 a[24:27], v35, s[24:27], 0 offen offset:2048// 000000007910: E05C1800 80861823
	v_mfma_f32_16x16x32_fp8_fp8 v[76:79], a[114:115], v[194:195], v[76:79]// 000000007918: D3F3004C 0D338572
	v_mfma_f32_16x16x32_fp8_fp8 v[76:79], a[116:117], v[196:197], v[76:79]// 000000007920: D3F3004C 0D338974
	v_mfma_f32_16x16x32_fp8_fp8 v[76:79], a[118:119], v[198:199], v[76:79]// 000000007928: D3F3004C 0D338D76
	v_mfma_f32_16x16x32_fp8_fp8 v[76:79], a[120:121], v[200:201], v[76:79]// 000000007930: D3F3004C 0D339178
	buffer_load_dwordx4 a[28:31], v35, s[24:27], 0 offen offset:3072// 000000007938: E05C1C00 80861C23
	v_mfma_f32_16x16x32_fp8_fp8 v[76:79], a[122:123], v[202:203], v[76:79]// 000000007940: D3F3004C 0D33957A
	v_mfma_f32_16x16x32_fp8_fp8 v[76:79], a[124:125], v[204:205], v[76:79]// 000000007948: D3F3004C 0D33997C
	v_mfma_f32_16x16x32_fp8_fp8 v[76:79], a[126:127], v[206:207], v[76:79]// 000000007950: D3F3004C 0D339D7E
	s_waitcnt vmcnt(20)                                        // 000000007958: BF8C4F74
	v_mfma_f32_16x16x32_fp8_fp8 v[80:83], a[128:129], v[176:177], v[80:83]// 00000000795C: D3F30050 0D436180
	buffer_load_dwordx4 a[32:35], v36, s[24:27], 0 offen       // 000000007964: E05C1000 80862024
	v_mfma_f32_16x16x32_fp8_fp8 v[80:83], a[130:131], v[178:179], v[80:83]// 00000000796C: D3F30050 0D436582
	v_mfma_f32_16x16x32_fp8_fp8 v[80:83], a[132:133], v[180:181], v[80:83]// 000000007974: D3F30050 0D436984
	ds_read_b128 v[208:211], v2 offset:8320                    // 00000000797C: D9FE2080 D0000002
	v_mfma_f32_16x16x32_fp8_fp8 v[80:83], a[134:135], v[182:183], v[80:83]// 000000007984: D3F30050 0D436D86
	v_mfma_f32_16x16x32_fp8_fp8 v[80:83], a[136:137], v[184:185], v[80:83]// 00000000798C: D3F30050 0D437188
	buffer_load_dwordx4 a[36:39], v36, s[24:27], 0 offen offset:1024// 000000007994: E05C1400 80862424
	v_mfma_f32_16x16x32_fp8_fp8 v[80:83], a[138:139], v[186:187], v[80:83]// 00000000799C: D3F30050 0D43758A
	v_mfma_f32_16x16x32_fp8_fp8 v[80:83], a[140:141], v[188:189], v[80:83]// 0000000079A4: D3F30050 0D43798C
	ds_read_b128 v[212:215], v2 offset:8384                    // 0000000079AC: D9FE20C0 D4000002
	v_mfma_f32_16x16x32_fp8_fp8 v[80:83], a[142:143], v[190:191], v[80:83]// 0000000079B4: D3F30050 0D437D8E
	v_mfma_f32_16x16x32_fp8_fp8 v[84:87], a[128:129], v[192:193], v[84:87]// 0000000079BC: D3F30054 0D538180
	buffer_load_dwordx4 a[40:43], v36, s[24:27], 0 offen offset:2048// 0000000079C4: E05C1800 80862824
	v_mfma_f32_16x16x32_fp8_fp8 v[84:87], a[130:131], v[194:195], v[84:87]// 0000000079CC: D3F30054 0D538582
	v_mfma_f32_16x16x32_fp8_fp8 v[84:87], a[132:133], v[196:197], v[84:87]// 0000000079D4: D3F30054 0D538984
	ds_read_b128 v[216:219], v2 offset:8448                    // 0000000079DC: D9FE2100 D8000002
	v_mfma_f32_16x16x32_fp8_fp8 v[84:87], a[134:135], v[198:199], v[84:87]// 0000000079E4: D3F30054 0D538D86
	v_mfma_f32_16x16x32_fp8_fp8 v[84:87], a[136:137], v[200:201], v[84:87]// 0000000079EC: D3F30054 0D539188
	buffer_load_dwordx4 a[44:47], v36, s[24:27], 0 offen offset:3072// 0000000079F4: E05C1C00 80862C24
	v_mfma_f32_16x16x32_fp8_fp8 v[84:87], a[138:139], v[202:203], v[84:87]// 0000000079FC: D3F30054 0D53958A
	v_mfma_f32_16x16x32_fp8_fp8 v[84:87], a[140:141], v[204:205], v[84:87]// 000000007A04: D3F30054 0D53998C
	ds_read_b128 v[220:223], v2 offset:8512                    // 000000007A0C: D9FE2140 DC000002
	v_mfma_f32_16x16x32_fp8_fp8 v[84:87], a[142:143], v[206:207], v[84:87]// 000000007A14: D3F30054 0D539D8E
	s_waitcnt vmcnt(20)                                        // 000000007A1C: BF8C4F74
	v_mfma_f32_16x16x32_fp8_fp8 v[88:91], a[144:145], v[176:177], v[88:91]// 000000007A20: D3F30058 0D636190
	buffer_load_dwordx4 a[48:51], v37, s[24:27], 0 offen       // 000000007A28: E05C1000 80863025
	v_mfma_f32_16x16x32_fp8_fp8 v[88:91], a[146:147], v[178:179], v[88:91]// 000000007A30: D3F30058 0D636592
	v_mfma_f32_16x16x32_fp8_fp8 v[88:91], a[148:149], v[180:181], v[88:91]// 000000007A38: D3F30058 0D636994
	ds_read_b128 v[224:227], v2 offset:9344                    // 000000007A40: D9FE2480 E0000002
	v_mfma_f32_16x16x32_fp8_fp8 v[88:91], a[150:151], v[182:183], v[88:91]// 000000007A48: D3F30058 0D636D96
	v_mfma_f32_16x16x32_fp8_fp8 v[88:91], a[152:153], v[184:185], v[88:91]// 000000007A50: D3F30058 0D637198
	buffer_load_dwordx4 a[52:55], v37, s[24:27], 0 offen offset:1024// 000000007A58: E05C1400 80863425
	v_mfma_f32_16x16x32_fp8_fp8 v[88:91], a[154:155], v[186:187], v[88:91]// 000000007A60: D3F30058 0D63759A
	v_mfma_f32_16x16x32_fp8_fp8 v[88:91], a[156:157], v[188:189], v[88:91]// 000000007A68: D3F30058 0D63799C
	ds_read_b128 v[228:231], v2 offset:9408                    // 000000007A70: D9FE24C0 E4000002
	v_mfma_f32_16x16x32_fp8_fp8 v[88:91], a[158:159], v[190:191], v[88:91]// 000000007A78: D3F30058 0D637D9E
	v_mfma_f32_16x16x32_fp8_fp8 v[92:95], a[144:145], v[192:193], v[92:95]// 000000007A80: D3F3005C 0D738190
	buffer_load_dwordx4 a[56:59], v37, s[24:27], 0 offen offset:2048// 000000007A88: E05C1800 80863825
	v_mfma_f32_16x16x32_fp8_fp8 v[92:95], a[146:147], v[194:195], v[92:95]// 000000007A90: D3F3005C 0D738592
	v_mfma_f32_16x16x32_fp8_fp8 v[92:95], a[148:149], v[196:197], v[92:95]// 000000007A98: D3F3005C 0D738994
	ds_read_b128 v[232:235], v2 offset:9472                    // 000000007AA0: D9FE2500 E8000002
	v_mfma_f32_16x16x32_fp8_fp8 v[92:95], a[150:151], v[198:199], v[92:95]// 000000007AA8: D3F3005C 0D738D96
	v_mfma_f32_16x16x32_fp8_fp8 v[92:95], a[152:153], v[200:201], v[92:95]// 000000007AB0: D3F3005C 0D739198
	buffer_load_dwordx4 a[60:63], v37, s[24:27], 0 offen offset:3072// 000000007AB8: E05C1C00 80863C25
	v_mfma_f32_16x16x32_fp8_fp8 v[92:95], a[154:155], v[202:203], v[92:95]// 000000007AC0: D3F3005C 0D73959A
	v_mfma_f32_16x16x32_fp8_fp8 v[92:95], a[156:157], v[204:205], v[92:95]// 000000007AC8: D3F3005C 0D73999C
	ds_read_b128 v[236:239], v2 offset:9536                    // 000000007AD0: D9FE2540 EC000002
	v_mfma_f32_16x16x32_fp8_fp8 v[92:95], a[158:159], v[206:207], v[92:95]// 000000007AD8: D3F3005C 0D739D9E
	s_waitcnt vmcnt(20)                                        // 000000007AE0: BF8C4F74
	v_mfma_f32_16x16x32_fp8_fp8 v[96:99], a[160:161], v[176:177], v[96:99]// 000000007AE4: D3F30060 0D8361A0
	buffer_load_dwordx4 a[64:67], v38, s[24:27], 0 offen       // 000000007AEC: E05C1000 80864026
	v_mfma_f32_16x16x32_fp8_fp8 v[96:99], a[162:163], v[178:179], v[96:99]// 000000007AF4: D3F30060 0D8365A2
	v_mfma_f32_16x16x32_fp8_fp8 v[96:99], a[164:165], v[180:181], v[96:99]// 000000007AFC: D3F30060 0D8369A4
	v_mfma_f32_16x16x32_fp8_fp8 v[96:99], a[166:167], v[182:183], v[96:99]// 000000007B04: D3F30060 0D836DA6
	v_mfma_f32_16x16x32_fp8_fp8 v[96:99], a[168:169], v[184:185], v[96:99]// 000000007B0C: D3F30060 0D8371A8
	buffer_load_dwordx4 a[68:71], v38, s[24:27], 0 offen offset:1024// 000000007B14: E05C1400 80864426
	v_mfma_f32_16x16x32_fp8_fp8 v[96:99], a[170:171], v[186:187], v[96:99]// 000000007B1C: D3F30060 0D8375AA
	v_mfma_f32_16x16x32_fp8_fp8 v[96:99], a[172:173], v[188:189], v[96:99]// 000000007B24: D3F30060 0D8379AC
	v_mfma_f32_16x16x32_fp8_fp8 v[96:99], a[174:175], v[190:191], v[96:99]// 000000007B2C: D3F30060 0D837DAE
	v_mfma_f32_16x16x32_fp8_fp8 v[100:103], a[160:161], v[192:193], v[100:103]// 000000007B34: D3F30064 0D9381A0
	buffer_load_dwordx4 a[72:75], v38, s[24:27], 0 offen offset:2048// 000000007B3C: E05C1800 80864826
	v_mfma_f32_16x16x32_fp8_fp8 v[100:103], a[162:163], v[194:195], v[100:103]// 000000007B44: D3F30064 0D9385A2
	v_mfma_f32_16x16x32_fp8_fp8 v[100:103], a[164:165], v[196:197], v[100:103]// 000000007B4C: D3F30064 0D9389A4
	v_mfma_f32_16x16x32_fp8_fp8 v[100:103], a[166:167], v[198:199], v[100:103]// 000000007B54: D3F30064 0D938DA6
	v_mfma_f32_16x16x32_fp8_fp8 v[100:103], a[168:169], v[200:201], v[100:103]// 000000007B5C: D3F30064 0D9391A8
	buffer_load_dwordx4 a[76:79], v38, s[24:27], 0 offen offset:3072// 000000007B64: E05C1C00 80864C26
	v_mfma_f32_16x16x32_fp8_fp8 v[100:103], a[170:171], v[202:203], v[100:103]// 000000007B6C: D3F30064 0D9395AA
	v_mfma_f32_16x16x32_fp8_fp8 v[100:103], a[172:173], v[204:205], v[100:103]// 000000007B74: D3F30064 0D9399AC
	v_mfma_f32_16x16x32_fp8_fp8 v[100:103], a[174:175], v[206:207], v[100:103]// 000000007B7C: D3F30064 0D939DAE
	s_waitcnt vmcnt(20)                                        // 000000007B84: BF8C4F74
	v_mfma_f32_16x16x32_fp8_fp8 v[104:107], a[176:177], v[176:177], v[104:107]// 000000007B88: D3F30068 0DA361B0
	buffer_load_dwordx4 a[80:83], v39, s[24:27], 0 offen       // 000000007B90: E05C1000 80865027
	v_mfma_f32_16x16x32_fp8_fp8 v[104:107], a[178:179], v[178:179], v[104:107]// 000000007B98: D3F30068 0DA365B2
	v_mfma_f32_16x16x32_fp8_fp8 v[104:107], a[180:181], v[180:181], v[104:107]// 000000007BA0: D3F30068 0DA369B4
	v_mfma_f32_16x16x32_fp8_fp8 v[104:107], a[182:183], v[182:183], v[104:107]// 000000007BA8: D3F30068 0DA36DB6
	v_mfma_f32_16x16x32_fp8_fp8 v[104:107], a[184:185], v[184:185], v[104:107]// 000000007BB0: D3F30068 0DA371B8
	buffer_load_dwordx4 a[84:87], v39, s[24:27], 0 offen offset:1024// 000000007BB8: E05C1400 80865427
	v_mfma_f32_16x16x32_fp8_fp8 v[104:107], a[186:187], v[186:187], v[104:107]// 000000007BC0: D3F30068 0DA375BA
	v_mfma_f32_16x16x32_fp8_fp8 v[104:107], a[188:189], v[188:189], v[104:107]// 000000007BC8: D3F30068 0DA379BC
	v_mfma_f32_16x16x32_fp8_fp8 v[104:107], a[190:191], v[190:191], v[104:107]// 000000007BD0: D3F30068 0DA37DBE
	v_mfma_f32_16x16x32_fp8_fp8 v[108:111], a[176:177], v[192:193], v[108:111]// 000000007BD8: D3F3006C 0DB381B0
	buffer_load_dwordx4 a[88:91], v39, s[24:27], 0 offen offset:2048// 000000007BE0: E05C1800 80865827
	v_mfma_f32_16x16x32_fp8_fp8 v[108:111], a[178:179], v[194:195], v[108:111]// 000000007BE8: D3F3006C 0DB385B2
	v_mfma_f32_16x16x32_fp8_fp8 v[108:111], a[180:181], v[196:197], v[108:111]// 000000007BF0: D3F3006C 0DB389B4
	v_mfma_f32_16x16x32_fp8_fp8 v[108:111], a[182:183], v[198:199], v[108:111]// 000000007BF8: D3F3006C 0DB38DB6
	v_mfma_f32_16x16x32_fp8_fp8 v[108:111], a[184:185], v[200:201], v[108:111]// 000000007C00: D3F3006C 0DB391B8
	buffer_load_dwordx4 a[92:95], v39, s[24:27], 0 offen offset:3072// 000000007C08: E05C1C00 80865C27
	v_mfma_f32_16x16x32_fp8_fp8 v[108:111], a[186:187], v[202:203], v[108:111]// 000000007C10: D3F3006C 0DB395BA
	v_mfma_f32_16x16x32_fp8_fp8 v[108:111], a[188:189], v[204:205], v[108:111]// 000000007C18: D3F3006C 0DB399BC
	v_mfma_f32_16x16x32_fp8_fp8 v[108:111], a[190:191], v[206:207], v[108:111]// 000000007C20: D3F3006C 0DB39DBE
	s_add_u32 s60, 0x200, s80                                  // 000000007C28: 803C50FF 00000200
	s_cmp_lt_u32 s60, s81                                      // 000000007C30: BF0A513C
	s_cselect_b32 s57, s57, 0                                  // 000000007C34: 85398039
	s_add_u32 s60, 0x200, s80                                  // 000000007C38: 803C50FF 00000200
	s_cmp_lt_u32 s60, s81                                      // 000000007C40: BF0A513C
	s_cselect_b32 s58, s58, 0                                  // 000000007C44: 853A803A
	s_add_u32 s20, s57, s20                                    // 000000007C48: 80141439
	s_addc_u32 s21, 0, s21                                     // 000000007C4C: 82151580
	s_add_u32 s24, s58, s24                                    // 000000007C50: 8018183A
	s_addc_u32 s25, 0, s25                                     // 000000007C54: 82191980
	s_add_u32 s92, s90, s92                                    // 000000007C58: 805C5C5A
	s_addc_u32 s93, 0, s93                                     // 000000007C5C: 825D5D80
	s_addk_i32 s80, 0x100                                      // 000000007C60: B7500100
	s_cmp_lt_i32 s80, s81                                      // 000000007C64: BF045150
	s_cbranch_scc0 label_15C8                                  // 000000007C68: BF84022D
	s_waitcnt vmcnt(16) lgkmcnt(0)                             // 000000007C6C: BF8C4070
	s_barrier                                                  // 000000007C70: BF8A0000
	v_mfma_f32_16x16x32_fp8_fp8 v[128:131], a[0:1], v[208:209], v[128:131]// 000000007C74: D3F30080 0E03A100
	buffer_load_dwordx4 a[96:99], v34, s[92:95], 0 offen       // 000000007C7C: E05C1000 80976022
	v_mfma_f32_16x16x32_fp8_fp8 v[128:131], a[2:3], v[210:211], v[128:131]// 000000007C84: D3F30080 0E03A502
	v_mfma_f32_16x16x32_fp8_fp8 v[128:131], a[4:5], v[212:213], v[128:131]// 000000007C8C: D3F30080 0E03A904
	buffer_load_dword v26, s[20:23], 0 offen lds               // 000000007C94: E0511000 8005001A
	s_add_u32 m0, 0x100, s50                                   // 000000007C9C: 807C32FF 00000100
	v_mfma_f32_16x16x32_fp8_fp8 v[128:131], a[6:7], v[214:215], v[128:131]// 000000007CA4: D3F30080 0E03AD06
	v_mfma_f32_16x16x32_fp8_fp8 v[128:131], a[8:9], v[216:217], v[128:131]// 000000007CAC: D3F30080 0E03B108
	buffer_load_dwordx4 a[100:103], v34, s[92:95], 0 offen offset:1024// 000000007CB4: E05C1400 80976422
	v_mfma_f32_16x16x32_fp8_fp8 v[128:131], a[10:11], v[218:219], v[128:131]// 000000007CBC: D3F30080 0E03B50A
	v_mfma_f32_16x16x32_fp8_fp8 v[128:131], a[12:13], v[220:221], v[128:131]// 000000007CC4: D3F30080 0E03B90C
	buffer_load_dword v27, s[20:23], 0 offen lds               // 000000007CCC: E0511000 8005001B
	s_add_u32 m0, 0x200, s50                                   // 000000007CD4: 807C32FF 00000200
	v_mfma_f32_16x16x32_fp8_fp8 v[128:131], a[14:15], v[222:223], v[128:131]// 000000007CDC: D3F30080 0E03BD0E
	v_mfma_f32_16x16x32_fp8_fp8 v[132:135], a[0:1], v[224:225], v[132:135]// 000000007CE4: D3F30084 0E13C100
	buffer_load_dwordx4 a[104:107], v34, s[92:95], 0 offen offset:2048// 000000007CEC: E05C1800 80976822
	v_mfma_f32_16x16x32_fp8_fp8 v[132:135], a[2:3], v[226:227], v[132:135]// 000000007CF4: D3F30084 0E13C502
	v_mfma_f32_16x16x32_fp8_fp8 v[132:135], a[4:5], v[228:229], v[132:135]// 000000007CFC: D3F30084 0E13C904
	buffer_load_dword v28, s[20:23], 0 offen lds               // 000000007D04: E0511000 8005001C
	s_add_u32 m0, 0x300, s50                                   // 000000007D0C: 807C32FF 00000300
	v_mfma_f32_16x16x32_fp8_fp8 v[132:135], a[6:7], v[230:231], v[132:135]// 000000007D14: D3F30084 0E13CD06
	v_mfma_f32_16x16x32_fp8_fp8 v[132:135], a[8:9], v[232:233], v[132:135]// 000000007D1C: D3F30084 0E13D108
	buffer_load_dwordx4 a[108:111], v34, s[92:95], 0 offen offset:3072// 000000007D24: E05C1C00 80976C22
	v_mfma_f32_16x16x32_fp8_fp8 v[132:135], a[10:11], v[234:235], v[132:135]// 000000007D2C: D3F30084 0E13D50A
	v_mfma_f32_16x16x32_fp8_fp8 v[132:135], a[12:13], v[236:237], v[132:135]// 000000007D34: D3F30084 0E13D90C
	buffer_load_dword v29, s[20:23], 0 offen lds               // 000000007D3C: E0511000 8005001D
	s_add_u32 m0, 0x400, s50                                   // 000000007D44: 807C32FF 00000400
	v_mfma_f32_16x16x32_fp8_fp8 v[132:135], a[14:15], v[238:239], v[132:135]// 000000007D4C: D3F30084 0E13DD0E
	v_mfma_f32_16x16x32_fp8_fp8 v[136:139], a[16:17], v[208:209], v[136:139]// 000000007D54: D3F30088 0E23A110
	buffer_load_dwordx4 a[112:115], v35, s[92:95], 0 offen     // 000000007D5C: E05C1000 80977023
	v_mfma_f32_16x16x32_fp8_fp8 v[136:139], a[18:19], v[210:211], v[136:139]// 000000007D64: D3F30088 0E23A512
	v_mfma_f32_16x16x32_fp8_fp8 v[136:139], a[20:21], v[212:213], v[136:139]// 000000007D6C: D3F30088 0E23A914
	buffer_load_dword v30, s[20:23], 0 offen lds               // 000000007D74: E0511000 8005001E
	s_add_u32 m0, 0x500, s50                                   // 000000007D7C: 807C32FF 00000500
	v_mfma_f32_16x16x32_fp8_fp8 v[136:139], a[22:23], v[214:215], v[136:139]// 000000007D84: D3F30088 0E23AD16
	v_mfma_f32_16x16x32_fp8_fp8 v[136:139], a[24:25], v[216:217], v[136:139]// 000000007D8C: D3F30088 0E23B118
	buffer_load_dwordx4 a[116:119], v35, s[92:95], 0 offen offset:1024// 000000007D94: E05C1400 80977423
	v_mfma_f32_16x16x32_fp8_fp8 v[136:139], a[26:27], v[218:219], v[136:139]// 000000007D9C: D3F30088 0E23B51A
	v_mfma_f32_16x16x32_fp8_fp8 v[136:139], a[28:29], v[220:221], v[136:139]// 000000007DA4: D3F30088 0E23B91C
	buffer_load_dword v31, s[20:23], 0 offen lds               // 000000007DAC: E0511000 8005001F
	s_add_u32 m0, 0x600, s50                                   // 000000007DB4: 807C32FF 00000600
	v_mfma_f32_16x16x32_fp8_fp8 v[136:139], a[30:31], v[222:223], v[136:139]// 000000007DBC: D3F30088 0E23BD1E
	v_mfma_f32_16x16x32_fp8_fp8 v[140:143], a[16:17], v[224:225], v[140:143]// 000000007DC4: D3F3008C 0E33C110
	buffer_load_dwordx4 a[120:123], v35, s[92:95], 0 offen offset:2048// 000000007DCC: E05C1800 80977823
	v_mfma_f32_16x16x32_fp8_fp8 v[140:143], a[18:19], v[226:227], v[140:143]// 000000007DD4: D3F3008C 0E33C512
	v_mfma_f32_16x16x32_fp8_fp8 v[140:143], a[20:21], v[228:229], v[140:143]// 000000007DDC: D3F3008C 0E33C914
	buffer_load_dword v32, s[20:23], 0 offen lds               // 000000007DE4: E0511000 80050020
	s_add_u32 m0, 0x700, s50                                   // 000000007DEC: 807C32FF 00000700
	v_mfma_f32_16x16x32_fp8_fp8 v[140:143], a[22:23], v[230:231], v[140:143]// 000000007DF4: D3F3008C 0E33CD16
	v_mfma_f32_16x16x32_fp8_fp8 v[140:143], a[24:25], v[232:233], v[140:143]// 000000007DFC: D3F3008C 0E33D118
	buffer_load_dwordx4 a[124:127], v35, s[92:95], 0 offen offset:3072// 000000007E04: E05C1C00 80977C23
	v_mfma_f32_16x16x32_fp8_fp8 v[140:143], a[26:27], v[234:235], v[140:143]// 000000007E0C: D3F3008C 0E33D51A
	v_mfma_f32_16x16x32_fp8_fp8 v[140:143], a[28:29], v[236:237], v[140:143]// 000000007E14: D3F3008C 0E33D91C
	buffer_load_dword v33, s[20:23], 0 offen lds               // 000000007E1C: E0511000 80050021
	s_add_u32 m0, 0, s51                                       // 000000007E24: 807C3380
	v_mfma_f32_16x16x32_fp8_fp8 v[140:143], a[30:31], v[238:239], v[140:143]// 000000007E28: D3F3008C 0E33DD1E
	s_waitcnt vmcnt(28)                                        // 000000007E30: BF8C4F7C
	v_mfma_f32_16x16x32_fp8_fp8 v[144:147], a[32:33], v[208:209], v[144:147]// 000000007E34: D3F30090 0E43A120
	buffer_load_dwordx4 a[128:131], v36, s[92:95], 0 offen     // 000000007E3C: E05C1000 80978024
	v_mfma_f32_16x16x32_fp8_fp8 v[144:147], a[34:35], v[210:211], v[144:147]// 000000007E44: D3F30090 0E43A522
	v_mfma_f32_16x16x32_fp8_fp8 v[144:147], a[36:37], v[212:213], v[144:147]// 000000007E4C: D3F30090 0E43A924
	v_mfma_f32_16x16x32_fp8_fp8 v[144:147], a[38:39], v[214:215], v[144:147]// 000000007E54: D3F30090 0E43AD26
	v_mfma_f32_16x16x32_fp8_fp8 v[144:147], a[40:41], v[216:217], v[144:147]// 000000007E5C: D3F30090 0E43B128
	buffer_load_dwordx4 a[132:135], v36, s[92:95], 0 offen offset:1024// 000000007E64: E05C1400 80978424
	v_mfma_f32_16x16x32_fp8_fp8 v[144:147], a[42:43], v[218:219], v[144:147]// 000000007E6C: D3F30090 0E43B52A
	v_mfma_f32_16x16x32_fp8_fp8 v[144:147], a[44:45], v[220:221], v[144:147]// 000000007E74: D3F30090 0E43B92C
	v_mfma_f32_16x16x32_fp8_fp8 v[144:147], a[46:47], v[222:223], v[144:147]// 000000007E7C: D3F30090 0E43BD2E
	v_mfma_f32_16x16x32_fp8_fp8 v[148:151], a[32:33], v[224:225], v[148:151]// 000000007E84: D3F30094 0E53C120
	buffer_load_dwordx4 a[136:139], v36, s[92:95], 0 offen offset:2048// 000000007E8C: E05C1800 80978824
	v_mfma_f32_16x16x32_fp8_fp8 v[148:151], a[34:35], v[226:227], v[148:151]// 000000007E94: D3F30094 0E53C522
	v_mfma_f32_16x16x32_fp8_fp8 v[148:151], a[36:37], v[228:229], v[148:151]// 000000007E9C: D3F30094 0E53C924
	v_mfma_f32_16x16x32_fp8_fp8 v[148:151], a[38:39], v[230:231], v[148:151]// 000000007EA4: D3F30094 0E53CD26
	v_mfma_f32_16x16x32_fp8_fp8 v[148:151], a[40:41], v[232:233], v[148:151]// 000000007EAC: D3F30094 0E53D128
	buffer_load_dwordx4 a[140:143], v36, s[92:95], 0 offen offset:3072// 000000007EB4: E05C1C00 80978C24
	v_mfma_f32_16x16x32_fp8_fp8 v[148:151], a[42:43], v[234:235], v[148:151]// 000000007EBC: D3F30094 0E53D52A
	v_mfma_f32_16x16x32_fp8_fp8 v[148:151], a[44:45], v[236:237], v[148:151]// 000000007EC4: D3F30094 0E53D92C
	v_mfma_f32_16x16x32_fp8_fp8 v[148:151], a[46:47], v[238:239], v[148:151]// 000000007ECC: D3F30094 0E53DD2E
	s_waitcnt vmcnt(28)                                        // 000000007ED4: BF8C4F7C
	v_mfma_f32_16x16x32_fp8_fp8 v[152:155], a[48:49], v[208:209], v[152:155]// 000000007ED8: D3F30098 0E63A130
	buffer_load_dwordx4 a[144:147], v37, s[92:95], 0 offen     // 000000007EE0: E05C1000 80979025
	v_mfma_f32_16x16x32_fp8_fp8 v[152:155], a[50:51], v[210:211], v[152:155]// 000000007EE8: D3F30098 0E63A532
	v_mfma_f32_16x16x32_fp8_fp8 v[152:155], a[52:53], v[212:213], v[152:155]// 000000007EF0: D3F30098 0E63A934
	v_mfma_f32_16x16x32_fp8_fp8 v[152:155], a[54:55], v[214:215], v[152:155]// 000000007EF8: D3F30098 0E63AD36
	v_mfma_f32_16x16x32_fp8_fp8 v[152:155], a[56:57], v[216:217], v[152:155]// 000000007F00: D3F30098 0E63B138
	buffer_load_dwordx4 a[148:151], v37, s[92:95], 0 offen offset:1024// 000000007F08: E05C1400 80979425
	v_mfma_f32_16x16x32_fp8_fp8 v[152:155], a[58:59], v[218:219], v[152:155]// 000000007F10: D3F30098 0E63B53A
	v_mfma_f32_16x16x32_fp8_fp8 v[152:155], a[60:61], v[220:221], v[152:155]// 000000007F18: D3F30098 0E63B93C
	v_mfma_f32_16x16x32_fp8_fp8 v[152:155], a[62:63], v[222:223], v[152:155]// 000000007F20: D3F30098 0E63BD3E
	v_mfma_f32_16x16x32_fp8_fp8 v[156:159], a[48:49], v[224:225], v[156:159]// 000000007F28: D3F3009C 0E73C130
	buffer_load_dwordx4 a[152:155], v37, s[92:95], 0 offen offset:2048// 000000007F30: E05C1800 80979825
	v_mfma_f32_16x16x32_fp8_fp8 v[156:159], a[50:51], v[226:227], v[156:159]// 000000007F38: D3F3009C 0E73C532
	v_mfma_f32_16x16x32_fp8_fp8 v[156:159], a[52:53], v[228:229], v[156:159]// 000000007F40: D3F3009C 0E73C934
	v_mfma_f32_16x16x32_fp8_fp8 v[156:159], a[54:55], v[230:231], v[156:159]// 000000007F48: D3F3009C 0E73CD36
	v_mfma_f32_16x16x32_fp8_fp8 v[156:159], a[56:57], v[232:233], v[156:159]// 000000007F50: D3F3009C 0E73D138
	buffer_load_dwordx4 a[156:159], v37, s[92:95], 0 offen offset:3072// 000000007F58: E05C1C00 80979C25
	v_mfma_f32_16x16x32_fp8_fp8 v[156:159], a[58:59], v[234:235], v[156:159]// 000000007F60: D3F3009C 0E73D53A
	v_mfma_f32_16x16x32_fp8_fp8 v[156:159], a[60:61], v[236:237], v[156:159]// 000000007F68: D3F3009C 0E73D93C
	v_mfma_f32_16x16x32_fp8_fp8 v[156:159], a[62:63], v[238:239], v[156:159]// 000000007F70: D3F3009C 0E73DD3E
	s_waitcnt vmcnt(28)                                        // 000000007F78: BF8C4F7C
	v_mfma_f32_16x16x32_fp8_fp8 v[160:163], a[64:65], v[208:209], v[160:163]// 000000007F7C: D3F300A0 0E83A140
	buffer_load_dwordx4 a[160:163], v38, s[92:95], 0 offen     // 000000007F84: E05C1000 8097A026
	v_mfma_f32_16x16x32_fp8_fp8 v[160:163], a[66:67], v[210:211], v[160:163]// 000000007F8C: D3F300A0 0E83A542
	v_mfma_f32_16x16x32_fp8_fp8 v[160:163], a[68:69], v[212:213], v[160:163]// 000000007F94: D3F300A0 0E83A944
	v_mfma_f32_16x16x32_fp8_fp8 v[160:163], a[70:71], v[214:215], v[160:163]// 000000007F9C: D3F300A0 0E83AD46
	v_mfma_f32_16x16x32_fp8_fp8 v[160:163], a[72:73], v[216:217], v[160:163]// 000000007FA4: D3F300A0 0E83B148
	buffer_load_dwordx4 a[164:167], v38, s[92:95], 0 offen offset:1024// 000000007FAC: E05C1400 8097A426
	v_mfma_f32_16x16x32_fp8_fp8 v[160:163], a[74:75], v[218:219], v[160:163]// 000000007FB4: D3F300A0 0E83B54A
	v_mfma_f32_16x16x32_fp8_fp8 v[160:163], a[76:77], v[220:221], v[160:163]// 000000007FBC: D3F300A0 0E83B94C
	v_mfma_f32_16x16x32_fp8_fp8 v[160:163], a[78:79], v[222:223], v[160:163]// 000000007FC4: D3F300A0 0E83BD4E
	v_mfma_f32_16x16x32_fp8_fp8 v[164:167], a[64:65], v[224:225], v[164:167]// 000000007FCC: D3F300A4 0E93C140
	buffer_load_dwordx4 a[168:171], v38, s[92:95], 0 offen offset:2048// 000000007FD4: E05C1800 8097A826
	v_mfma_f32_16x16x32_fp8_fp8 v[164:167], a[66:67], v[226:227], v[164:167]// 000000007FDC: D3F300A4 0E93C542
	v_mfma_f32_16x16x32_fp8_fp8 v[164:167], a[68:69], v[228:229], v[164:167]// 000000007FE4: D3F300A4 0E93C944
	v_mfma_f32_16x16x32_fp8_fp8 v[164:167], a[70:71], v[230:231], v[164:167]// 000000007FEC: D3F300A4 0E93CD46
	v_mfma_f32_16x16x32_fp8_fp8 v[164:167], a[72:73], v[232:233], v[164:167]// 000000007FF4: D3F300A4 0E93D148
	buffer_load_dwordx4 a[172:175], v38, s[92:95], 0 offen offset:3072// 000000007FFC: E05C1C00 8097AC26
	v_mfma_f32_16x16x32_fp8_fp8 v[164:167], a[74:75], v[234:235], v[164:167]// 000000008004: D3F300A4 0E93D54A
	v_mfma_f32_16x16x32_fp8_fp8 v[164:167], a[76:77], v[236:237], v[164:167]// 00000000800C: D3F300A4 0E93D94C
	v_mfma_f32_16x16x32_fp8_fp8 v[164:167], a[78:79], v[238:239], v[164:167]// 000000008014: D3F300A4 0E93DD4E
	s_waitcnt vmcnt(28)                                        // 00000000801C: BF8C4F7C
	v_mfma_f32_16x16x32_fp8_fp8 v[168:171], a[80:81], v[208:209], v[168:171]// 000000008020: D3F300A8 0EA3A150
	buffer_load_dwordx4 a[176:179], v39, s[92:95], 0 offen     // 000000008028: E05C1000 8097B027
	v_mfma_f32_16x16x32_fp8_fp8 v[168:171], a[82:83], v[210:211], v[168:171]// 000000008030: D3F300A8 0EA3A552
	v_mfma_f32_16x16x32_fp8_fp8 v[168:171], a[84:85], v[212:213], v[168:171]// 000000008038: D3F300A8 0EA3A954
	v_mfma_f32_16x16x32_fp8_fp8 v[168:171], a[86:87], v[214:215], v[168:171]// 000000008040: D3F300A8 0EA3AD56
	v_mfma_f32_16x16x32_fp8_fp8 v[168:171], a[88:89], v[216:217], v[168:171]// 000000008048: D3F300A8 0EA3B158
	buffer_load_dwordx4 a[180:183], v39, s[92:95], 0 offen offset:1024// 000000008050: E05C1400 8097B427
	v_mfma_f32_16x16x32_fp8_fp8 v[168:171], a[90:91], v[218:219], v[168:171]// 000000008058: D3F300A8 0EA3B55A
	v_mfma_f32_16x16x32_fp8_fp8 v[168:171], a[92:93], v[220:221], v[168:171]// 000000008060: D3F300A8 0EA3B95C
	v_mfma_f32_16x16x32_fp8_fp8 v[168:171], a[94:95], v[222:223], v[168:171]// 000000008068: D3F300A8 0EA3BD5E
	v_mfma_f32_16x16x32_fp8_fp8 v[172:175], a[80:81], v[224:225], v[172:175]// 000000008070: D3F300AC 0EB3C150
	buffer_load_dwordx4 a[184:187], v39, s[92:95], 0 offen offset:2048// 000000008078: E05C1800 8097B827
	v_mfma_f32_16x16x32_fp8_fp8 v[172:175], a[82:83], v[226:227], v[172:175]// 000000008080: D3F300AC 0EB3C552
	v_mfma_f32_16x16x32_fp8_fp8 v[172:175], a[84:85], v[228:229], v[172:175]// 000000008088: D3F300AC 0EB3C954
	v_mfma_f32_16x16x32_fp8_fp8 v[172:175], a[86:87], v[230:231], v[172:175]// 000000008090: D3F300AC 0EB3CD56
	v_mfma_f32_16x16x32_fp8_fp8 v[172:175], a[88:89], v[232:233], v[172:175]// 000000008098: D3F300AC 0EB3D158
	buffer_load_dwordx4 a[188:191], v39, s[92:95], 0 offen offset:3072// 0000000080A0: E05C1C00 8097BC27
	v_mfma_f32_16x16x32_fp8_fp8 v[172:175], a[90:91], v[234:235], v[172:175]// 0000000080A8: D3F300AC 0EB3D55A
	v_mfma_f32_16x16x32_fp8_fp8 v[172:175], a[92:93], v[236:237], v[172:175]// 0000000080B0: D3F300AC 0EB3D95C
	v_mfma_f32_16x16x32_fp8_fp8 v[172:175], a[94:95], v[238:239], v[172:175]// 0000000080B8: D3F300AC 0EB3DD5E
	s_waitcnt vmcnt(16)                                        // 0000000080C0: BF8C4F70
	s_barrier                                                  // 0000000080C4: BF8A0000
	v_mfma_f32_16x16x32_fp8_fp8 v[64:67], a[96:97], v[208:209], v[64:67]// 0000000080C8: D3F30040 0D03A160
	buffer_load_dwordx4 a[0:3], v34, s[24:27], 0 offen         // 0000000080D0: E05C1000 80860022
	v_mfma_f32_16x16x32_fp8_fp8 v[64:67], a[98:99], v[210:211], v[64:67]// 0000000080D8: D3F30040 0D03A562
	v_mfma_f32_16x16x32_fp8_fp8 v[64:67], a[100:101], v[212:213], v[64:67]// 0000000080E0: D3F30040 0D03A964
	v_mfma_f32_16x16x32_fp8_fp8 v[64:67], a[102:103], v[214:215], v[64:67]// 0000000080E8: D3F30040 0D03AD66
	v_mfma_f32_16x16x32_fp8_fp8 v[64:67], a[104:105], v[216:217], v[64:67]// 0000000080F0: D3F30040 0D03B168
	buffer_load_dwordx4 a[4:7], v34, s[24:27], 0 offen offset:1024// 0000000080F8: E05C1400 80860422
	v_mfma_f32_16x16x32_fp8_fp8 v[64:67], a[106:107], v[218:219], v[64:67]// 000000008100: D3F30040 0D03B56A
	v_mfma_f32_16x16x32_fp8_fp8 v[64:67], a[108:109], v[220:221], v[64:67]// 000000008108: D3F30040 0D03B96C
	v_mfma_f32_16x16x32_fp8_fp8 v[64:67], a[110:111], v[222:223], v[64:67]// 000000008110: D3F30040 0D03BD6E
	v_mfma_f32_16x16x32_fp8_fp8 v[68:71], a[96:97], v[224:225], v[68:71]// 000000008118: D3F30044 0D13C160
	buffer_load_dwordx4 a[8:11], v34, s[24:27], 0 offen offset:2048// 000000008120: E05C1800 80860822
	v_mfma_f32_16x16x32_fp8_fp8 v[68:71], a[98:99], v[226:227], v[68:71]// 000000008128: D3F30044 0D13C562
	v_mfma_f32_16x16x32_fp8_fp8 v[68:71], a[100:101], v[228:229], v[68:71]// 000000008130: D3F30044 0D13C964
	v_mfma_f32_16x16x32_fp8_fp8 v[68:71], a[102:103], v[230:231], v[68:71]// 000000008138: D3F30044 0D13CD66
	v_mfma_f32_16x16x32_fp8_fp8 v[68:71], a[104:105], v[232:233], v[68:71]// 000000008140: D3F30044 0D13D168
	buffer_load_dwordx4 a[12:15], v34, s[24:27], 0 offen offset:3072// 000000008148: E05C1C00 80860C22
	v_mfma_f32_16x16x32_fp8_fp8 v[68:71], a[106:107], v[234:235], v[68:71]// 000000008150: D3F30044 0D13D56A
	v_mfma_f32_16x16x32_fp8_fp8 v[68:71], a[108:109], v[236:237], v[68:71]// 000000008158: D3F30044 0D13D96C
	v_mfma_f32_16x16x32_fp8_fp8 v[68:71], a[110:111], v[238:239], v[68:71]// 000000008160: D3F30044 0D13DD6E
	v_mfma_f32_16x16x32_fp8_fp8 v[72:75], a[112:113], v[208:209], v[72:75]// 000000008168: D3F30048 0D23A170
	buffer_load_dwordx4 a[16:19], v35, s[24:27], 0 offen       // 000000008170: E05C1000 80861023
	v_mfma_f32_16x16x32_fp8_fp8 v[72:75], a[114:115], v[210:211], v[72:75]// 000000008178: D3F30048 0D23A572
	v_mfma_f32_16x16x32_fp8_fp8 v[72:75], a[116:117], v[212:213], v[72:75]// 000000008180: D3F30048 0D23A974
	v_mfma_f32_16x16x32_fp8_fp8 v[72:75], a[118:119], v[214:215], v[72:75]// 000000008188: D3F30048 0D23AD76
	v_mfma_f32_16x16x32_fp8_fp8 v[72:75], a[120:121], v[216:217], v[72:75]// 000000008190: D3F30048 0D23B178
	buffer_load_dwordx4 a[20:23], v35, s[24:27], 0 offen offset:1024// 000000008198: E05C1400 80861423
	v_mfma_f32_16x16x32_fp8_fp8 v[72:75], a[122:123], v[218:219], v[72:75]// 0000000081A0: D3F30048 0D23B57A
	v_mfma_f32_16x16x32_fp8_fp8 v[72:75], a[124:125], v[220:221], v[72:75]// 0000000081A8: D3F30048 0D23B97C
	v_mfma_f32_16x16x32_fp8_fp8 v[72:75], a[126:127], v[222:223], v[72:75]// 0000000081B0: D3F30048 0D23BD7E
	v_mfma_f32_16x16x32_fp8_fp8 v[76:79], a[112:113], v[224:225], v[76:79]// 0000000081B8: D3F3004C 0D33C170
	buffer_load_dwordx4 a[24:27], v35, s[24:27], 0 offen offset:2048// 0000000081C0: E05C1800 80861823
	v_mfma_f32_16x16x32_fp8_fp8 v[76:79], a[114:115], v[226:227], v[76:79]// 0000000081C8: D3F3004C 0D33C572
	v_mfma_f32_16x16x32_fp8_fp8 v[76:79], a[116:117], v[228:229], v[76:79]// 0000000081D0: D3F3004C 0D33C974
	v_mfma_f32_16x16x32_fp8_fp8 v[76:79], a[118:119], v[230:231], v[76:79]// 0000000081D8: D3F3004C 0D33CD76
	v_mfma_f32_16x16x32_fp8_fp8 v[76:79], a[120:121], v[232:233], v[76:79]// 0000000081E0: D3F3004C 0D33D178
	buffer_load_dwordx4 a[28:31], v35, s[24:27], 0 offen offset:3072// 0000000081E8: E05C1C00 80861C23
	v_mfma_f32_16x16x32_fp8_fp8 v[76:79], a[122:123], v[234:235], v[76:79]// 0000000081F0: D3F3004C 0D33D57A
	v_mfma_f32_16x16x32_fp8_fp8 v[76:79], a[124:125], v[236:237], v[76:79]// 0000000081F8: D3F3004C 0D33D97C
	v_mfma_f32_16x16x32_fp8_fp8 v[76:79], a[126:127], v[238:239], v[76:79]// 000000008200: D3F3004C 0D33DD7E
	s_waitcnt vmcnt(20)                                        // 000000008208: BF8C4F74
	v_mfma_f32_16x16x32_fp8_fp8 v[80:83], a[128:129], v[208:209], v[80:83]// 00000000820C: D3F30050 0D43A180
	buffer_load_dwordx4 a[32:35], v36, s[24:27], 0 offen       // 000000008214: E05C1000 80862024
	v_mfma_f32_16x16x32_fp8_fp8 v[80:83], a[130:131], v[210:211], v[80:83]// 00000000821C: D3F30050 0D43A582
	v_mfma_f32_16x16x32_fp8_fp8 v[80:83], a[132:133], v[212:213], v[80:83]// 000000008224: D3F30050 0D43A984
	ds_read_b128 v[176:179], v2                                // 00000000822C: D9FE0000 B0000002
	v_mfma_f32_16x16x32_fp8_fp8 v[80:83], a[134:135], v[214:215], v[80:83]// 000000008234: D3F30050 0D43AD86
	v_mfma_f32_16x16x32_fp8_fp8 v[80:83], a[136:137], v[216:217], v[80:83]// 00000000823C: D3F30050 0D43B188
	buffer_load_dwordx4 a[36:39], v36, s[24:27], 0 offen offset:1024// 000000008244: E05C1400 80862424
	v_mfma_f32_16x16x32_fp8_fp8 v[80:83], a[138:139], v[218:219], v[80:83]// 00000000824C: D3F30050 0D43B58A
	v_mfma_f32_16x16x32_fp8_fp8 v[80:83], a[140:141], v[220:221], v[80:83]// 000000008254: D3F30050 0D43B98C
	ds_read_b128 v[180:183], v2 offset:64                      // 00000000825C: D9FE0040 B4000002
	v_mfma_f32_16x16x32_fp8_fp8 v[80:83], a[142:143], v[222:223], v[80:83]// 000000008264: D3F30050 0D43BD8E
	v_mfma_f32_16x16x32_fp8_fp8 v[84:87], a[128:129], v[224:225], v[84:87]// 00000000826C: D3F30054 0D53C180
	buffer_load_dwordx4 a[40:43], v36, s[24:27], 0 offen offset:2048// 000000008274: E05C1800 80862824
	v_mfma_f32_16x16x32_fp8_fp8 v[84:87], a[130:131], v[226:227], v[84:87]// 00000000827C: D3F30054 0D53C582
	v_mfma_f32_16x16x32_fp8_fp8 v[84:87], a[132:133], v[228:229], v[84:87]// 000000008284: D3F30054 0D53C984
	ds_read_b128 v[184:187], v2 offset:128                     // 00000000828C: D9FE0080 B8000002
	v_mfma_f32_16x16x32_fp8_fp8 v[84:87], a[134:135], v[230:231], v[84:87]// 000000008294: D3F30054 0D53CD86
	v_mfma_f32_16x16x32_fp8_fp8 v[84:87], a[136:137], v[232:233], v[84:87]// 00000000829C: D3F30054 0D53D188
	buffer_load_dwordx4 a[44:47], v36, s[24:27], 0 offen offset:3072// 0000000082A4: E05C1C00 80862C24
	v_mfma_f32_16x16x32_fp8_fp8 v[84:87], a[138:139], v[234:235], v[84:87]// 0000000082AC: D3F30054 0D53D58A
	v_mfma_f32_16x16x32_fp8_fp8 v[84:87], a[140:141], v[236:237], v[84:87]// 0000000082B4: D3F30054 0D53D98C
	ds_read_b128 v[188:191], v2 offset:192                     // 0000000082BC: D9FE00C0 BC000002
	v_mfma_f32_16x16x32_fp8_fp8 v[84:87], a[142:143], v[238:239], v[84:87]// 0000000082C4: D3F30054 0D53DD8E
	s_waitcnt vmcnt(20)                                        // 0000000082CC: BF8C4F74
	v_mfma_f32_16x16x32_fp8_fp8 v[88:91], a[144:145], v[208:209], v[88:91]// 0000000082D0: D3F30058 0D63A190
	buffer_load_dwordx4 a[48:51], v37, s[24:27], 0 offen       // 0000000082D8: E05C1000 80863025
	v_mfma_f32_16x16x32_fp8_fp8 v[88:91], a[146:147], v[210:211], v[88:91]// 0000000082E0: D3F30058 0D63A592
	v_mfma_f32_16x16x32_fp8_fp8 v[88:91], a[148:149], v[212:213], v[88:91]// 0000000082E8: D3F30058 0D63A994
	ds_read_b128 v[192:195], v2 offset:1024                    // 0000000082F0: D9FE0400 C0000002
	v_mfma_f32_16x16x32_fp8_fp8 v[88:91], a[150:151], v[214:215], v[88:91]// 0000000082F8: D3F30058 0D63AD96
	v_mfma_f32_16x16x32_fp8_fp8 v[88:91], a[152:153], v[216:217], v[88:91]// 000000008300: D3F30058 0D63B198
	buffer_load_dwordx4 a[52:55], v37, s[24:27], 0 offen offset:1024// 000000008308: E05C1400 80863425
	v_mfma_f32_16x16x32_fp8_fp8 v[88:91], a[154:155], v[218:219], v[88:91]// 000000008310: D3F30058 0D63B59A
	v_mfma_f32_16x16x32_fp8_fp8 v[88:91], a[156:157], v[220:221], v[88:91]// 000000008318: D3F30058 0D63B99C
	ds_read_b128 v[196:199], v2 offset:1088                    // 000000008320: D9FE0440 C4000002
	v_mfma_f32_16x16x32_fp8_fp8 v[88:91], a[158:159], v[222:223], v[88:91]// 000000008328: D3F30058 0D63BD9E
	v_mfma_f32_16x16x32_fp8_fp8 v[92:95], a[144:145], v[224:225], v[92:95]// 000000008330: D3F3005C 0D73C190
	buffer_load_dwordx4 a[56:59], v37, s[24:27], 0 offen offset:2048// 000000008338: E05C1800 80863825
	v_mfma_f32_16x16x32_fp8_fp8 v[92:95], a[146:147], v[226:227], v[92:95]// 000000008340: D3F3005C 0D73C592
	v_mfma_f32_16x16x32_fp8_fp8 v[92:95], a[148:149], v[228:229], v[92:95]// 000000008348: D3F3005C 0D73C994
	ds_read_b128 v[200:203], v2 offset:1152                    // 000000008350: D9FE0480 C8000002
	v_mfma_f32_16x16x32_fp8_fp8 v[92:95], a[150:151], v[230:231], v[92:95]// 000000008358: D3F3005C 0D73CD96
	v_mfma_f32_16x16x32_fp8_fp8 v[92:95], a[152:153], v[232:233], v[92:95]// 000000008360: D3F3005C 0D73D198
	buffer_load_dwordx4 a[60:63], v37, s[24:27], 0 offen offset:3072// 000000008368: E05C1C00 80863C25
	v_mfma_f32_16x16x32_fp8_fp8 v[92:95], a[154:155], v[234:235], v[92:95]// 000000008370: D3F3005C 0D73D59A
	v_mfma_f32_16x16x32_fp8_fp8 v[92:95], a[156:157], v[236:237], v[92:95]// 000000008378: D3F3005C 0D73D99C
	ds_read_b128 v[204:207], v2 offset:1216                    // 000000008380: D9FE04C0 CC000002
	v_mfma_f32_16x16x32_fp8_fp8 v[92:95], a[158:159], v[238:239], v[92:95]// 000000008388: D3F3005C 0D73DD9E
	s_waitcnt vmcnt(20)                                        // 000000008390: BF8C4F74
	v_mfma_f32_16x16x32_fp8_fp8 v[96:99], a[160:161], v[208:209], v[96:99]// 000000008394: D3F30060 0D83A1A0
	buffer_load_dwordx4 a[64:67], v38, s[24:27], 0 offen       // 00000000839C: E05C1000 80864026
	v_mfma_f32_16x16x32_fp8_fp8 v[96:99], a[162:163], v[210:211], v[96:99]// 0000000083A4: D3F30060 0D83A5A2
	v_mfma_f32_16x16x32_fp8_fp8 v[96:99], a[164:165], v[212:213], v[96:99]// 0000000083AC: D3F30060 0D83A9A4
	v_mfma_f32_16x16x32_fp8_fp8 v[96:99], a[166:167], v[214:215], v[96:99]// 0000000083B4: D3F30060 0D83ADA6
	v_mfma_f32_16x16x32_fp8_fp8 v[96:99], a[168:169], v[216:217], v[96:99]// 0000000083BC: D3F30060 0D83B1A8
	buffer_load_dwordx4 a[68:71], v38, s[24:27], 0 offen offset:1024// 0000000083C4: E05C1400 80864426
	v_mfma_f32_16x16x32_fp8_fp8 v[96:99], a[170:171], v[218:219], v[96:99]// 0000000083CC: D3F30060 0D83B5AA
	v_mfma_f32_16x16x32_fp8_fp8 v[96:99], a[172:173], v[220:221], v[96:99]// 0000000083D4: D3F30060 0D83B9AC
	v_mfma_f32_16x16x32_fp8_fp8 v[96:99], a[174:175], v[222:223], v[96:99]// 0000000083DC: D3F30060 0D83BDAE
	v_mfma_f32_16x16x32_fp8_fp8 v[100:103], a[160:161], v[224:225], v[100:103]// 0000000083E4: D3F30064 0D93C1A0
	buffer_load_dwordx4 a[72:75], v38, s[24:27], 0 offen offset:2048// 0000000083EC: E05C1800 80864826
	v_mfma_f32_16x16x32_fp8_fp8 v[100:103], a[162:163], v[226:227], v[100:103]// 0000000083F4: D3F30064 0D93C5A2
	v_mfma_f32_16x16x32_fp8_fp8 v[100:103], a[164:165], v[228:229], v[100:103]// 0000000083FC: D3F30064 0D93C9A4
	v_mfma_f32_16x16x32_fp8_fp8 v[100:103], a[166:167], v[230:231], v[100:103]// 000000008404: D3F30064 0D93CDA6
	v_mfma_f32_16x16x32_fp8_fp8 v[100:103], a[168:169], v[232:233], v[100:103]// 00000000840C: D3F30064 0D93D1A8
	buffer_load_dwordx4 a[76:79], v38, s[24:27], 0 offen offset:3072// 000000008414: E05C1C00 80864C26
	v_mfma_f32_16x16x32_fp8_fp8 v[100:103], a[170:171], v[234:235], v[100:103]// 00000000841C: D3F30064 0D93D5AA
	v_mfma_f32_16x16x32_fp8_fp8 v[100:103], a[172:173], v[236:237], v[100:103]// 000000008424: D3F30064 0D93D9AC
	v_mfma_f32_16x16x32_fp8_fp8 v[100:103], a[174:175], v[238:239], v[100:103]// 00000000842C: D3F30064 0D93DDAE
	s_waitcnt vmcnt(20)                                        // 000000008434: BF8C4F74
	v_mfma_f32_16x16x32_fp8_fp8 v[104:107], a[176:177], v[208:209], v[104:107]// 000000008438: D3F30068 0DA3A1B0
	buffer_load_dwordx4 a[80:83], v39, s[24:27], 0 offen       // 000000008440: E05C1000 80865027
	v_mfma_f32_16x16x32_fp8_fp8 v[104:107], a[178:179], v[210:211], v[104:107]// 000000008448: D3F30068 0DA3A5B2
	v_mfma_f32_16x16x32_fp8_fp8 v[104:107], a[180:181], v[212:213], v[104:107]// 000000008450: D3F30068 0DA3A9B4
	v_mfma_f32_16x16x32_fp8_fp8 v[104:107], a[182:183], v[214:215], v[104:107]// 000000008458: D3F30068 0DA3ADB6
	v_mfma_f32_16x16x32_fp8_fp8 v[104:107], a[184:185], v[216:217], v[104:107]// 000000008460: D3F30068 0DA3B1B8
	buffer_load_dwordx4 a[84:87], v39, s[24:27], 0 offen offset:1024// 000000008468: E05C1400 80865427
	v_mfma_f32_16x16x32_fp8_fp8 v[104:107], a[186:187], v[218:219], v[104:107]// 000000008470: D3F30068 0DA3B5BA
	v_mfma_f32_16x16x32_fp8_fp8 v[104:107], a[188:189], v[220:221], v[104:107]// 000000008478: D3F30068 0DA3B9BC
	v_mfma_f32_16x16x32_fp8_fp8 v[104:107], a[190:191], v[222:223], v[104:107]// 000000008480: D3F30068 0DA3BDBE
	v_mfma_f32_16x16x32_fp8_fp8 v[108:111], a[176:177], v[224:225], v[108:111]// 000000008488: D3F3006C 0DB3C1B0
	buffer_load_dwordx4 a[88:91], v39, s[24:27], 0 offen offset:2048// 000000008490: E05C1800 80865827
	v_mfma_f32_16x16x32_fp8_fp8 v[108:111], a[178:179], v[226:227], v[108:111]// 000000008498: D3F3006C 0DB3C5B2
	v_mfma_f32_16x16x32_fp8_fp8 v[108:111], a[180:181], v[228:229], v[108:111]// 0000000084A0: D3F3006C 0DB3C9B4
	v_mfma_f32_16x16x32_fp8_fp8 v[108:111], a[182:183], v[230:231], v[108:111]// 0000000084A8: D3F3006C 0DB3CDB6
	v_mfma_f32_16x16x32_fp8_fp8 v[108:111], a[184:185], v[232:233], v[108:111]// 0000000084B0: D3F3006C 0DB3D1B8
	buffer_load_dwordx4 a[92:95], v39, s[24:27], 0 offen offset:3072// 0000000084B8: E05C1C00 80865C27
	v_mfma_f32_16x16x32_fp8_fp8 v[108:111], a[186:187], v[234:235], v[108:111]// 0000000084C0: D3F3006C 0DB3D5BA
	v_mfma_f32_16x16x32_fp8_fp8 v[108:111], a[188:189], v[236:237], v[108:111]// 0000000084C8: D3F3006C 0DB3D9BC
	v_mfma_f32_16x16x32_fp8_fp8 v[108:111], a[190:191], v[238:239], v[108:111]// 0000000084D0: D3F3006C 0DB3DDBE
	s_add_u32 s60, 0x200, s80                                  // 0000000084D8: 803C50FF 00000200
	s_cmp_lt_u32 s60, s81                                      // 0000000084E0: BF0A513C
	s_cselect_b32 s57, s57, 0                                  // 0000000084E4: 85398039
	s_add_u32 s60, 0x200, s80                                  // 0000000084E8: 803C50FF 00000200
	s_cmp_lt_u32 s60, s81                                      // 0000000084F0: BF0A513C
	s_cselect_b32 s58, s58, 0                                  // 0000000084F4: 853A803A
	s_add_u32 s20, s57, s20                                    // 0000000084F8: 80141439
	s_addc_u32 s21, 0, s21                                     // 0000000084FC: 82151580
	s_add_u32 s24, s58, s24                                    // 000000008500: 8018183A
	s_addc_u32 s25, 0, s25                                     // 000000008504: 82191980
	s_add_u32 s92, s90, s92                                    // 000000008508: 805C5C5A
	s_addc_u32 s93, 0, s93                                     // 00000000850C: 825D5D80
	s_addk_i32 s80, 0x100                                      // 000000008510: B7500100
	s_cmp_lt_i32 s80, s81                                      // 000000008514: BF045150
	s_cbranch_scc0 label_15C8                                  // 000000008518: BF840001
	s_branch label_116F                                        // 00000000851C: BF82FBA7

0000000000008520 <label_15C8>:
	s_mov_b32 s36, -1                                          // 000000008520: BEA400C1
	s_mov_b32 s37, -1                                          // 000000008524: BEA500C1
	s_mov_b64 s[60:61], 0                                      // 000000008528: BEBC0180
	s_cmp_lt_u32 s82, s66                                      // 00000000852C: BF0A4252
	s_cselect_b64 s[20:21], s[36:37], s[60:61]                 // 000000008530: 85943C24
	s_cmp_lt_u32 s83, s66                                      // 000000008534: BF0A4253
	s_cselect_b64 s[22:23], s[36:37], s[60:61]                 // 000000008538: 85963C24
	s_cmp_lt_u32 s84, s66                                      // 00000000853C: BF0A4254
	s_cselect_b64 s[24:25], s[36:37], s[60:61]                 // 000000008540: 85983C24
	s_cmp_lt_u32 s85, s66                                      // 000000008544: BF0A4255
	s_cselect_b64 s[26:27], s[36:37], s[60:61]                 // 000000008548: 859A3C24
	s_cmp_lt_u32 s86, s66                                      // 00000000854C: BF0A4256
	s_cselect_b64 s[28:29], s[36:37], s[60:61]                 // 000000008550: 859C3C24
	s_cmp_lt_u32 s87, s66                                      // 000000008554: BF0A4257
	s_cselect_b64 s[30:31], s[36:37], s[60:61]                 // 000000008558: 859E3C24
	s_cmp_lt_u32 s88, s66                                      // 00000000855C: BF0A4258
	s_cselect_b64 s[32:33], s[36:37], s[60:61]                 // 000000008560: 85A03C24
	s_cmp_lt_u32 s89, s66                                      // 000000008564: BF0A4259
	s_cselect_b64 s[34:35], s[36:37], s[60:61]                 // 000000008568: 85A23C24
	v_mul_f32_e32 v128, v14, v128                              // 00000000856C: 0B01010E
	v_mul_f32_e32 v128, v20, v128                              // 000000008570: 0B010114
	v_mul_f32_e32 v129, v14, v129                              // 000000008574: 0B03030E
	v_mul_f32_e32 v129, v20, v129                              // 000000008578: 0B030314
	v_mul_f32_e32 v130, v14, v130                              // 00000000857C: 0B05050E
	v_mul_f32_e32 v130, v20, v130                              // 000000008580: 0B050514
	v_mul_f32_e32 v131, v14, v131                              // 000000008584: 0B07070E
	v_mul_f32_e32 v131, v20, v131                              // 000000008588: 0B070714
	v_mul_f32_dpp v128, v16, v128 row_newbcast:0 row_mask:0xf bank_mask:0xf// 00000000858C: 0B0100FA FF015010
	v_mul_f32_dpp v129, v16, v129 row_newbcast:1 row_mask:0xf bank_mask:0xf// 000000008594: 0B0302FA FF015110
	v_mul_f32_dpp v130, v16, v130 row_newbcast:2 row_mask:0xf bank_mask:0xf// 00000000859C: 0B0504FA FF015210
	v_mul_f32_dpp v131, v16, v131 row_newbcast:3 row_mask:0xf bank_mask:0xf// 0000000085A4: 0B0706FA FF015310
	v_mul_f32_e32 v132, v15, v132                              // 0000000085AC: 0B09090F
	v_mul_f32_e32 v132, v21, v132                              // 0000000085B0: 0B090915
	v_mul_f32_e32 v133, v15, v133                              // 0000000085B4: 0B0B0B0F
	v_mul_f32_e32 v133, v21, v133                              // 0000000085B8: 0B0B0B15
	v_mul_f32_e32 v134, v15, v134                              // 0000000085BC: 0B0D0D0F
	v_mul_f32_e32 v134, v21, v134                              // 0000000085C0: 0B0D0D15
	v_mul_f32_e32 v135, v15, v135                              // 0000000085C4: 0B0F0F0F
	v_mul_f32_e32 v135, v21, v135                              // 0000000085C8: 0B0F0F15
	v_mul_f32_dpp v132, v16, v132 row_newbcast:0 row_mask:0xf bank_mask:0xf// 0000000085CC: 0B0908FA FF015010
	v_mul_f32_dpp v133, v16, v133 row_newbcast:1 row_mask:0xf bank_mask:0xf// 0000000085D4: 0B0B0AFA FF015110
	v_mul_f32_dpp v134, v16, v134 row_newbcast:2 row_mask:0xf bank_mask:0xf// 0000000085DC: 0B0D0CFA FF015210
	v_mul_f32_dpp v135, v16, v135 row_newbcast:3 row_mask:0xf bank_mask:0xf// 0000000085E4: 0B0F0EFA FF015310
	v_mul_f32_e32 v136, v14, v136                              // 0000000085EC: 0B11110E
	v_mul_f32_e32 v136, v20, v136                              // 0000000085F0: 0B111114
	v_mul_f32_e32 v137, v14, v137                              // 0000000085F4: 0B13130E
	v_mul_f32_e32 v137, v20, v137                              // 0000000085F8: 0B131314
	v_mul_f32_e32 v138, v14, v138                              // 0000000085FC: 0B15150E
	v_mul_f32_e32 v138, v20, v138                              // 000000008600: 0B151514
	v_mul_f32_e32 v139, v14, v139                              // 000000008604: 0B17170E
	v_mul_f32_e32 v139, v20, v139                              // 000000008608: 0B171714
	v_mul_f32_dpp v136, v16, v136 row_newbcast:4 row_mask:0xf bank_mask:0xf// 00000000860C: 0B1110FA FF015410
	v_mul_f32_dpp v137, v16, v137 row_newbcast:5 row_mask:0xf bank_mask:0xf// 000000008614: 0B1312FA FF015510
	v_mul_f32_dpp v138, v16, v138 row_newbcast:6 row_mask:0xf bank_mask:0xf// 00000000861C: 0B1514FA FF015610
	v_mul_f32_dpp v139, v16, v139 row_newbcast:7 row_mask:0xf bank_mask:0xf// 000000008624: 0B1716FA FF015710
	v_mul_f32_e32 v140, v15, v140                              // 00000000862C: 0B19190F
	v_mul_f32_e32 v140, v21, v140                              // 000000008630: 0B191915
	v_mul_f32_e32 v141, v15, v141                              // 000000008634: 0B1B1B0F
	v_mul_f32_e32 v141, v21, v141                              // 000000008638: 0B1B1B15
	v_mul_f32_e32 v142, v15, v142                              // 00000000863C: 0B1D1D0F
	v_mul_f32_e32 v142, v21, v142                              // 000000008640: 0B1D1D15
	v_mul_f32_e32 v143, v15, v143                              // 000000008644: 0B1F1F0F
	v_mul_f32_e32 v143, v21, v143                              // 000000008648: 0B1F1F15
	v_mul_f32_dpp v140, v16, v140 row_newbcast:4 row_mask:0xf bank_mask:0xf// 00000000864C: 0B1918FA FF015410
	v_mul_f32_dpp v141, v16, v141 row_newbcast:5 row_mask:0xf bank_mask:0xf// 000000008654: 0B1B1AFA FF015510
	v_mul_f32_dpp v142, v16, v142 row_newbcast:6 row_mask:0xf bank_mask:0xf// 00000000865C: 0B1D1CFA FF015610
	v_mul_f32_dpp v143, v16, v143 row_newbcast:7 row_mask:0xf bank_mask:0xf// 000000008664: 0B1F1EFA FF015710
	v_mul_f32_e32 v144, v14, v144                              // 00000000866C: 0B21210E
	v_mul_f32_e32 v144, v20, v144                              // 000000008670: 0B212114
	v_mul_f32_e32 v145, v14, v145                              // 000000008674: 0B23230E
	v_mul_f32_e32 v145, v20, v145                              // 000000008678: 0B232314
	v_mul_f32_e32 v146, v14, v146                              // 00000000867C: 0B25250E
	v_mul_f32_e32 v146, v20, v146                              // 000000008680: 0B252514
	v_mul_f32_e32 v147, v14, v147                              // 000000008684: 0B27270E
	v_mul_f32_e32 v147, v20, v147                              // 000000008688: 0B272714
	v_mul_f32_dpp v144, v16, v144 row_newbcast:8 row_mask:0xf bank_mask:0xf// 00000000868C: 0B2120FA FF015810
	v_mul_f32_dpp v145, v16, v145 row_newbcast:9 row_mask:0xf bank_mask:0xf// 000000008694: 0B2322FA FF015910
	v_mul_f32_dpp v146, v16, v146 row_newbcast:10 row_mask:0xf bank_mask:0xf// 00000000869C: 0B2524FA FF015A10
	v_mul_f32_dpp v147, v16, v147 row_newbcast:11 row_mask:0xf bank_mask:0xf// 0000000086A4: 0B2726FA FF015B10
	v_mul_f32_e32 v148, v15, v148                              // 0000000086AC: 0B29290F
	v_mul_f32_e32 v148, v21, v148                              // 0000000086B0: 0B292915
	v_mul_f32_e32 v149, v15, v149                              // 0000000086B4: 0B2B2B0F
	v_mul_f32_e32 v149, v21, v149                              // 0000000086B8: 0B2B2B15
	v_mul_f32_e32 v150, v15, v150                              // 0000000086BC: 0B2D2D0F
	v_mul_f32_e32 v150, v21, v150                              // 0000000086C0: 0B2D2D15
	v_mul_f32_e32 v151, v15, v151                              // 0000000086C4: 0B2F2F0F
	v_mul_f32_e32 v151, v21, v151                              // 0000000086C8: 0B2F2F15
	v_mul_f32_dpp v148, v16, v148 row_newbcast:8 row_mask:0xf bank_mask:0xf// 0000000086CC: 0B2928FA FF015810
	v_mul_f32_dpp v149, v16, v149 row_newbcast:9 row_mask:0xf bank_mask:0xf// 0000000086D4: 0B2B2AFA FF015910
	v_mul_f32_dpp v150, v16, v150 row_newbcast:10 row_mask:0xf bank_mask:0xf// 0000000086DC: 0B2D2CFA FF015A10
	v_mul_f32_dpp v151, v16, v151 row_newbcast:11 row_mask:0xf bank_mask:0xf// 0000000086E4: 0B2F2EFA FF015B10
	v_mul_f32_e32 v152, v14, v152                              // 0000000086EC: 0B31310E
	v_mul_f32_e32 v152, v20, v152                              // 0000000086F0: 0B313114
	v_mul_f32_e32 v153, v14, v153                              // 0000000086F4: 0B33330E
	v_mul_f32_e32 v153, v20, v153                              // 0000000086F8: 0B333314
	v_mul_f32_e32 v154, v14, v154                              // 0000000086FC: 0B35350E
	v_mul_f32_e32 v154, v20, v154                              // 000000008700: 0B353514
	v_mul_f32_e32 v155, v14, v155                              // 000000008704: 0B37370E
	v_mul_f32_e32 v155, v20, v155                              // 000000008708: 0B373714
	v_mul_f32_dpp v152, v16, v152 row_newbcast:12 row_mask:0xf bank_mask:0xf// 00000000870C: 0B3130FA FF015C10
	v_mul_f32_dpp v153, v16, v153 row_newbcast:13 row_mask:0xf bank_mask:0xf// 000000008714: 0B3332FA FF015D10
	v_mul_f32_dpp v154, v16, v154 row_newbcast:14 row_mask:0xf bank_mask:0xf// 00000000871C: 0B3534FA FF015E10
	v_mul_f32_dpp v155, v16, v155 row_newbcast:15 row_mask:0xf bank_mask:0xf// 000000008724: 0B3736FA FF015F10
	v_mul_f32_e32 v156, v15, v156                              // 00000000872C: 0B39390F
	v_mul_f32_e32 v156, v21, v156                              // 000000008730: 0B393915
	v_mul_f32_e32 v157, v15, v157                              // 000000008734: 0B3B3B0F
	v_mul_f32_e32 v157, v21, v157                              // 000000008738: 0B3B3B15
	v_mul_f32_e32 v158, v15, v158                              // 00000000873C: 0B3D3D0F
	v_mul_f32_e32 v158, v21, v158                              // 000000008740: 0B3D3D15
	v_mul_f32_e32 v159, v15, v159                              // 000000008744: 0B3F3F0F
	v_mul_f32_e32 v159, v21, v159                              // 000000008748: 0B3F3F15
	v_mul_f32_dpp v156, v16, v156 row_newbcast:12 row_mask:0xf bank_mask:0xf// 00000000874C: 0B3938FA FF015C10
	v_mul_f32_dpp v157, v16, v157 row_newbcast:13 row_mask:0xf bank_mask:0xf// 000000008754: 0B3B3AFA FF015D10
	v_mul_f32_dpp v158, v16, v158 row_newbcast:14 row_mask:0xf bank_mask:0xf// 00000000875C: 0B3D3CFA FF015E10
	v_mul_f32_dpp v159, v16, v159 row_newbcast:15 row_mask:0xf bank_mask:0xf// 000000008764: 0B3F3EFA FF015F10
	v_mul_f32_e32 v160, v14, v160                              // 00000000876C: 0B41410E
	v_mul_f32_e32 v160, v20, v160                              // 000000008770: 0B414114
	v_mul_f32_e32 v161, v14, v161                              // 000000008774: 0B43430E
	v_mul_f32_e32 v161, v20, v161                              // 000000008778: 0B434314
	v_mul_f32_e32 v162, v14, v162                              // 00000000877C: 0B45450E
	v_mul_f32_e32 v162, v20, v162                              // 000000008780: 0B454514
	v_mul_f32_e32 v163, v14, v163                              // 000000008784: 0B47470E
	v_mul_f32_e32 v163, v20, v163                              // 000000008788: 0B474714
	v_mul_f32_dpp v160, v17, v160 row_newbcast:0 row_mask:0xf bank_mask:0xf// 00000000878C: 0B4140FA FF015011
	v_mul_f32_dpp v161, v17, v161 row_newbcast:1 row_mask:0xf bank_mask:0xf// 000000008794: 0B4342FA FF015111
	v_mul_f32_dpp v162, v17, v162 row_newbcast:2 row_mask:0xf bank_mask:0xf// 00000000879C: 0B4544FA FF015211
	v_mul_f32_dpp v163, v17, v163 row_newbcast:3 row_mask:0xf bank_mask:0xf// 0000000087A4: 0B4746FA FF015311
	v_mul_f32_e32 v164, v15, v164                              // 0000000087AC: 0B49490F
	v_mul_f32_e32 v164, v21, v164                              // 0000000087B0: 0B494915
	v_mul_f32_e32 v165, v15, v165                              // 0000000087B4: 0B4B4B0F
	v_mul_f32_e32 v165, v21, v165                              // 0000000087B8: 0B4B4B15
	v_mul_f32_e32 v166, v15, v166                              // 0000000087BC: 0B4D4D0F
	v_mul_f32_e32 v166, v21, v166                              // 0000000087C0: 0B4D4D15
	v_mul_f32_e32 v167, v15, v167                              // 0000000087C4: 0B4F4F0F
	v_mul_f32_e32 v167, v21, v167                              // 0000000087C8: 0B4F4F15
	v_mul_f32_dpp v164, v17, v164 row_newbcast:0 row_mask:0xf bank_mask:0xf// 0000000087CC: 0B4948FA FF015011
	v_mul_f32_dpp v165, v17, v165 row_newbcast:1 row_mask:0xf bank_mask:0xf// 0000000087D4: 0B4B4AFA FF015111
	v_mul_f32_dpp v166, v17, v166 row_newbcast:2 row_mask:0xf bank_mask:0xf// 0000000087DC: 0B4D4CFA FF015211
	v_mul_f32_dpp v167, v17, v167 row_newbcast:3 row_mask:0xf bank_mask:0xf// 0000000087E4: 0B4F4EFA FF015311
	v_mul_f32_e32 v168, v14, v168                              // 0000000087EC: 0B51510E
	v_mul_f32_e32 v168, v20, v168                              // 0000000087F0: 0B515114
	v_mul_f32_e32 v169, v14, v169                              // 0000000087F4: 0B53530E
	v_mul_f32_e32 v169, v20, v169                              // 0000000087F8: 0B535314
	v_mul_f32_e32 v170, v14, v170                              // 0000000087FC: 0B55550E
	v_mul_f32_e32 v170, v20, v170                              // 000000008800: 0B555514
	v_mul_f32_e32 v171, v14, v171                              // 000000008804: 0B57570E
	v_mul_f32_e32 v171, v20, v171                              // 000000008808: 0B575714
	v_mul_f32_dpp v168, v17, v168 row_newbcast:4 row_mask:0xf bank_mask:0xf// 00000000880C: 0B5150FA FF015411
	v_mul_f32_dpp v169, v17, v169 row_newbcast:5 row_mask:0xf bank_mask:0xf// 000000008814: 0B5352FA FF015511
	v_mul_f32_dpp v170, v17, v170 row_newbcast:6 row_mask:0xf bank_mask:0xf// 00000000881C: 0B5554FA FF015611
	v_mul_f32_dpp v171, v17, v171 row_newbcast:7 row_mask:0xf bank_mask:0xf// 000000008824: 0B5756FA FF015711
	v_mul_f32_e32 v172, v15, v172                              // 00000000882C: 0B59590F
	v_mul_f32_e32 v172, v21, v172                              // 000000008830: 0B595915
	v_mul_f32_e32 v173, v15, v173                              // 000000008834: 0B5B5B0F
	v_mul_f32_e32 v173, v21, v173                              // 000000008838: 0B5B5B15
	v_mul_f32_e32 v174, v15, v174                              // 00000000883C: 0B5D5D0F
	v_mul_f32_e32 v174, v21, v174                              // 000000008840: 0B5D5D15
	v_mul_f32_e32 v175, v15, v175                              // 000000008844: 0B5F5F0F
	v_mul_f32_e32 v175, v21, v175                              // 000000008848: 0B5F5F15
	v_mul_f32_dpp v172, v17, v172 row_newbcast:4 row_mask:0xf bank_mask:0xf// 00000000884C: 0B5958FA FF015411
	v_mul_f32_dpp v173, v17, v173 row_newbcast:5 row_mask:0xf bank_mask:0xf// 000000008854: 0B5B5AFA FF015511
	v_mul_f32_dpp v174, v17, v174 row_newbcast:6 row_mask:0xf bank_mask:0xf// 00000000885C: 0B5D5CFA FF015611
	v_mul_f32_dpp v175, v17, v175 row_newbcast:7 row_mask:0xf bank_mask:0xf// 000000008864: 0B5F5EFA FF015711
	v_mul_f32_e32 v64, v14, v64                                // 00000000886C: 0A80810E
	v_mul_f32_e32 v64, v20, v64                                // 000000008870: 0A808114
	v_mul_f32_e32 v65, v14, v65                                // 000000008874: 0A82830E
	v_mul_f32_e32 v65, v20, v65                                // 000000008878: 0A828314
	v_mul_f32_e32 v66, v14, v66                                // 00000000887C: 0A84850E
	v_mul_f32_e32 v66, v20, v66                                // 000000008880: 0A848514
	v_mul_f32_e32 v67, v14, v67                                // 000000008884: 0A86870E
	v_mul_f32_e32 v67, v20, v67                                // 000000008888: 0A868714
	v_mul_f32_dpp v64, v48, v64 row_newbcast:0 row_mask:0xf bank_mask:0xf// 00000000888C: 0A8080FA FF015030
	v_mul_f32_dpp v65, v48, v65 row_newbcast:1 row_mask:0xf bank_mask:0xf// 000000008894: 0A8282FA FF015130
	v_mul_f32_dpp v66, v48, v66 row_newbcast:2 row_mask:0xf bank_mask:0xf// 00000000889C: 0A8484FA FF015230
	v_mul_f32_dpp v67, v48, v67 row_newbcast:3 row_mask:0xf bank_mask:0xf// 0000000088A4: 0A8686FA FF015330
	v_mul_f32_e32 v68, v15, v68                                // 0000000088AC: 0A88890F
	v_mul_f32_e32 v68, v21, v68                                // 0000000088B0: 0A888915
	v_mul_f32_e32 v69, v15, v69                                // 0000000088B4: 0A8A8B0F
	v_mul_f32_e32 v69, v21, v69                                // 0000000088B8: 0A8A8B15
	v_mul_f32_e32 v70, v15, v70                                // 0000000088BC: 0A8C8D0F
	v_mul_f32_e32 v70, v21, v70                                // 0000000088C0: 0A8C8D15
	v_mul_f32_e32 v71, v15, v71                                // 0000000088C4: 0A8E8F0F
	v_mul_f32_e32 v71, v21, v71                                // 0000000088C8: 0A8E8F15
	v_mul_f32_dpp v68, v48, v68 row_newbcast:0 row_mask:0xf bank_mask:0xf// 0000000088CC: 0A8888FA FF015030
	v_mul_f32_dpp v69, v48, v69 row_newbcast:1 row_mask:0xf bank_mask:0xf// 0000000088D4: 0A8A8AFA FF015130
	v_mul_f32_dpp v70, v48, v70 row_newbcast:2 row_mask:0xf bank_mask:0xf// 0000000088DC: 0A8C8CFA FF015230
	v_mul_f32_dpp v71, v48, v71 row_newbcast:3 row_mask:0xf bank_mask:0xf// 0000000088E4: 0A8E8EFA FF015330
	v_mul_f32_e32 v72, v14, v72                                // 0000000088EC: 0A90910E
	v_mul_f32_e32 v72, v20, v72                                // 0000000088F0: 0A909114
	v_mul_f32_e32 v73, v14, v73                                // 0000000088F4: 0A92930E
	v_mul_f32_e32 v73, v20, v73                                // 0000000088F8: 0A929314
	v_mul_f32_e32 v74, v14, v74                                // 0000000088FC: 0A94950E
	v_mul_f32_e32 v74, v20, v74                                // 000000008900: 0A949514
	v_mul_f32_e32 v75, v14, v75                                // 000000008904: 0A96970E
	v_mul_f32_e32 v75, v20, v75                                // 000000008908: 0A969714
	v_mul_f32_dpp v72, v48, v72 row_newbcast:4 row_mask:0xf bank_mask:0xf// 00000000890C: 0A9090FA FF015430
	v_mul_f32_dpp v73, v48, v73 row_newbcast:5 row_mask:0xf bank_mask:0xf// 000000008914: 0A9292FA FF015530
	v_mul_f32_dpp v74, v48, v74 row_newbcast:6 row_mask:0xf bank_mask:0xf// 00000000891C: 0A9494FA FF015630
	v_mul_f32_dpp v75, v48, v75 row_newbcast:7 row_mask:0xf bank_mask:0xf// 000000008924: 0A9696FA FF015730
	v_mul_f32_e32 v76, v15, v76                                // 00000000892C: 0A98990F
	v_mul_f32_e32 v76, v21, v76                                // 000000008930: 0A989915
	v_mul_f32_e32 v77, v15, v77                                // 000000008934: 0A9A9B0F
	v_mul_f32_e32 v77, v21, v77                                // 000000008938: 0A9A9B15
	v_mul_f32_e32 v78, v15, v78                                // 00000000893C: 0A9C9D0F
	v_mul_f32_e32 v78, v21, v78                                // 000000008940: 0A9C9D15
	v_mul_f32_e32 v79, v15, v79                                // 000000008944: 0A9E9F0F
	v_mul_f32_e32 v79, v21, v79                                // 000000008948: 0A9E9F15
	v_mul_f32_dpp v76, v48, v76 row_newbcast:4 row_mask:0xf bank_mask:0xf// 00000000894C: 0A9898FA FF015430
	v_mul_f32_dpp v77, v48, v77 row_newbcast:5 row_mask:0xf bank_mask:0xf// 000000008954: 0A9A9AFA FF015530
	v_mul_f32_dpp v78, v48, v78 row_newbcast:6 row_mask:0xf bank_mask:0xf// 00000000895C: 0A9C9CFA FF015630
	v_mul_f32_dpp v79, v48, v79 row_newbcast:7 row_mask:0xf bank_mask:0xf// 000000008964: 0A9E9EFA FF015730
	v_mul_f32_e32 v80, v14, v80                                // 00000000896C: 0AA0A10E
	v_mul_f32_e32 v80, v20, v80                                // 000000008970: 0AA0A114
	v_mul_f32_e32 v81, v14, v81                                // 000000008974: 0AA2A30E
	v_mul_f32_e32 v81, v20, v81                                // 000000008978: 0AA2A314
	v_mul_f32_e32 v82, v14, v82                                // 00000000897C: 0AA4A50E
	v_mul_f32_e32 v82, v20, v82                                // 000000008980: 0AA4A514
	v_mul_f32_e32 v83, v14, v83                                // 000000008984: 0AA6A70E
	v_mul_f32_e32 v83, v20, v83                                // 000000008988: 0AA6A714
	v_mul_f32_dpp v80, v48, v80 row_newbcast:8 row_mask:0xf bank_mask:0xf// 00000000898C: 0AA0A0FA FF015830
	v_mul_f32_dpp v81, v48, v81 row_newbcast:9 row_mask:0xf bank_mask:0xf// 000000008994: 0AA2A2FA FF015930
	v_mul_f32_dpp v82, v48, v82 row_newbcast:10 row_mask:0xf bank_mask:0xf// 00000000899C: 0AA4A4FA FF015A30
	v_mul_f32_dpp v83, v48, v83 row_newbcast:11 row_mask:0xf bank_mask:0xf// 0000000089A4: 0AA6A6FA FF015B30
	v_mul_f32_e32 v84, v15, v84                                // 0000000089AC: 0AA8A90F
	v_mul_f32_e32 v84, v21, v84                                // 0000000089B0: 0AA8A915
	v_mul_f32_e32 v85, v15, v85                                // 0000000089B4: 0AAAAB0F
	v_mul_f32_e32 v85, v21, v85                                // 0000000089B8: 0AAAAB15
	v_mul_f32_e32 v86, v15, v86                                // 0000000089BC: 0AACAD0F
	v_mul_f32_e32 v86, v21, v86                                // 0000000089C0: 0AACAD15
	v_mul_f32_e32 v87, v15, v87                                // 0000000089C4: 0AAEAF0F
	v_mul_f32_e32 v87, v21, v87                                // 0000000089C8: 0AAEAF15
	v_mul_f32_dpp v84, v48, v84 row_newbcast:8 row_mask:0xf bank_mask:0xf// 0000000089CC: 0AA8A8FA FF015830
	v_mul_f32_dpp v85, v48, v85 row_newbcast:9 row_mask:0xf bank_mask:0xf// 0000000089D4: 0AAAAAFA FF015930
	v_mul_f32_dpp v86, v48, v86 row_newbcast:10 row_mask:0xf bank_mask:0xf// 0000000089DC: 0AACACFA FF015A30
	v_mul_f32_dpp v87, v48, v87 row_newbcast:11 row_mask:0xf bank_mask:0xf// 0000000089E4: 0AAEAEFA FF015B30
	v_mul_f32_e32 v88, v14, v88                                // 0000000089EC: 0AB0B10E
	v_mul_f32_e32 v88, v20, v88                                // 0000000089F0: 0AB0B114
	v_mul_f32_e32 v89, v14, v89                                // 0000000089F4: 0AB2B30E
	v_mul_f32_e32 v89, v20, v89                                // 0000000089F8: 0AB2B314
	v_mul_f32_e32 v90, v14, v90                                // 0000000089FC: 0AB4B50E
	v_mul_f32_e32 v90, v20, v90                                // 000000008A00: 0AB4B514
	v_mul_f32_e32 v91, v14, v91                                // 000000008A04: 0AB6B70E
	v_mul_f32_e32 v91, v20, v91                                // 000000008A08: 0AB6B714
	v_mul_f32_dpp v88, v48, v88 row_newbcast:12 row_mask:0xf bank_mask:0xf// 000000008A0C: 0AB0B0FA FF015C30
	v_mul_f32_dpp v89, v48, v89 row_newbcast:13 row_mask:0xf bank_mask:0xf// 000000008A14: 0AB2B2FA FF015D30
	v_mul_f32_dpp v90, v48, v90 row_newbcast:14 row_mask:0xf bank_mask:0xf// 000000008A1C: 0AB4B4FA FF015E30
	v_mul_f32_dpp v91, v48, v91 row_newbcast:15 row_mask:0xf bank_mask:0xf// 000000008A24: 0AB6B6FA FF015F30
	v_mul_f32_e32 v92, v15, v92                                // 000000008A2C: 0AB8B90F
	v_mul_f32_e32 v92, v21, v92                                // 000000008A30: 0AB8B915
	v_mul_f32_e32 v93, v15, v93                                // 000000008A34: 0ABABB0F
	v_mul_f32_e32 v93, v21, v93                                // 000000008A38: 0ABABB15
	v_mul_f32_e32 v94, v15, v94                                // 000000008A3C: 0ABCBD0F
	v_mul_f32_e32 v94, v21, v94                                // 000000008A40: 0ABCBD15
	v_mul_f32_e32 v95, v15, v95                                // 000000008A44: 0ABEBF0F
	v_mul_f32_e32 v95, v21, v95                                // 000000008A48: 0ABEBF15
	v_mul_f32_dpp v92, v48, v92 row_newbcast:12 row_mask:0xf bank_mask:0xf// 000000008A4C: 0AB8B8FA FF015C30
	v_mul_f32_dpp v93, v48, v93 row_newbcast:13 row_mask:0xf bank_mask:0xf// 000000008A54: 0ABABAFA FF015D30
	v_mul_f32_dpp v94, v48, v94 row_newbcast:14 row_mask:0xf bank_mask:0xf// 000000008A5C: 0ABCBCFA FF015E30
	v_mul_f32_dpp v95, v48, v95 row_newbcast:15 row_mask:0xf bank_mask:0xf// 000000008A64: 0ABEBEFA FF015F30
	v_mul_f32_e32 v96, v14, v96                                // 000000008A6C: 0AC0C10E
	v_mul_f32_e32 v96, v20, v96                                // 000000008A70: 0AC0C114
	v_mul_f32_e32 v97, v14, v97                                // 000000008A74: 0AC2C30E
	v_mul_f32_e32 v97, v20, v97                                // 000000008A78: 0AC2C314
	v_mul_f32_e32 v98, v14, v98                                // 000000008A7C: 0AC4C50E
	v_mul_f32_e32 v98, v20, v98                                // 000000008A80: 0AC4C514
	v_mul_f32_e32 v99, v14, v99                                // 000000008A84: 0AC6C70E
	v_mul_f32_e32 v99, v20, v99                                // 000000008A88: 0AC6C714
	v_mul_f32_dpp v96, v49, v96 row_newbcast:0 row_mask:0xf bank_mask:0xf// 000000008A8C: 0AC0C0FA FF015031
	v_mul_f32_dpp v97, v49, v97 row_newbcast:1 row_mask:0xf bank_mask:0xf// 000000008A94: 0AC2C2FA FF015131
	v_mul_f32_dpp v98, v49, v98 row_newbcast:2 row_mask:0xf bank_mask:0xf// 000000008A9C: 0AC4C4FA FF015231
	v_mul_f32_dpp v99, v49, v99 row_newbcast:3 row_mask:0xf bank_mask:0xf// 000000008AA4: 0AC6C6FA FF015331
	v_mul_f32_e32 v100, v15, v100                              // 000000008AAC: 0AC8C90F
	v_mul_f32_e32 v100, v21, v100                              // 000000008AB0: 0AC8C915
	v_mul_f32_e32 v101, v15, v101                              // 000000008AB4: 0ACACB0F
	v_mul_f32_e32 v101, v21, v101                              // 000000008AB8: 0ACACB15
	v_mul_f32_e32 v102, v15, v102                              // 000000008ABC: 0ACCCD0F
	v_mul_f32_e32 v102, v21, v102                              // 000000008AC0: 0ACCCD15
	v_mul_f32_e32 v103, v15, v103                              // 000000008AC4: 0ACECF0F
	v_mul_f32_e32 v103, v21, v103                              // 000000008AC8: 0ACECF15
	v_mul_f32_dpp v100, v49, v100 row_newbcast:0 row_mask:0xf bank_mask:0xf// 000000008ACC: 0AC8C8FA FF015031
	v_mul_f32_dpp v101, v49, v101 row_newbcast:1 row_mask:0xf bank_mask:0xf// 000000008AD4: 0ACACAFA FF015131
	v_mul_f32_dpp v102, v49, v102 row_newbcast:2 row_mask:0xf bank_mask:0xf// 000000008ADC: 0ACCCCFA FF015231
	v_mul_f32_dpp v103, v49, v103 row_newbcast:3 row_mask:0xf bank_mask:0xf// 000000008AE4: 0ACECEFA FF015331
	v_mul_f32_e32 v104, v14, v104                              // 000000008AEC: 0AD0D10E
	v_mul_f32_e32 v104, v20, v104                              // 000000008AF0: 0AD0D114
	v_mul_f32_e32 v105, v14, v105                              // 000000008AF4: 0AD2D30E
	v_mul_f32_e32 v105, v20, v105                              // 000000008AF8: 0AD2D314
	v_mul_f32_e32 v106, v14, v106                              // 000000008AFC: 0AD4D50E
	v_mul_f32_e32 v106, v20, v106                              // 000000008B00: 0AD4D514
	v_mul_f32_e32 v107, v14, v107                              // 000000008B04: 0AD6D70E
	v_mul_f32_e32 v107, v20, v107                              // 000000008B08: 0AD6D714
	v_mul_f32_dpp v104, v49, v104 row_newbcast:4 row_mask:0xf bank_mask:0xf// 000000008B0C: 0AD0D0FA FF015431
	v_mul_f32_dpp v105, v49, v105 row_newbcast:5 row_mask:0xf bank_mask:0xf// 000000008B14: 0AD2D2FA FF015531
	v_mul_f32_dpp v106, v49, v106 row_newbcast:6 row_mask:0xf bank_mask:0xf// 000000008B1C: 0AD4D4FA FF015631
	v_mul_f32_dpp v107, v49, v107 row_newbcast:7 row_mask:0xf bank_mask:0xf// 000000008B24: 0AD6D6FA FF015731
	v_mul_f32_e32 v108, v15, v108                              // 000000008B2C: 0AD8D90F
	v_mul_f32_e32 v108, v21, v108                              // 000000008B30: 0AD8D915
	v_mul_f32_e32 v109, v15, v109                              // 000000008B34: 0ADADB0F
	v_mul_f32_e32 v109, v21, v109                              // 000000008B38: 0ADADB15
	v_mul_f32_e32 v110, v15, v110                              // 000000008B3C: 0ADCDD0F
	v_mul_f32_e32 v110, v21, v110                              // 000000008B40: 0ADCDD15
	v_mul_f32_e32 v111, v15, v111                              // 000000008B44: 0ADEDF0F
	v_mul_f32_e32 v111, v21, v111                              // 000000008B48: 0ADEDF15
	v_mul_f32_dpp v108, v49, v108 row_newbcast:4 row_mask:0xf bank_mask:0xf// 000000008B4C: 0AD8D8FA FF015431
	v_mul_f32_dpp v109, v49, v109 row_newbcast:5 row_mask:0xf bank_mask:0xf// 000000008B54: 0ADADAFA FF015531
	v_mul_f32_dpp v110, v49, v110 row_newbcast:6 row_mask:0xf bank_mask:0xf// 000000008B5C: 0ADCDCFA FF015631
	v_mul_f32_dpp v111, v49, v111 row_newbcast:7 row_mask:0xf bank_mask:0xf// 000000008B64: 0ADEDEFA FF015731
	s_waitcnt vmcnt(20)                                        // 000000008B6C: BF8C4F74
	buffer_load_dwordx4 a[0:3], v40, s[12:15], 0 offen         // 000000008B70: E05C1000 80830028
	v_mul_f32_e64 v50, -v128, s6                               // 000000008B78: D1050032 20000D80
	v_mul_f32_e64 v51, -v129, s6                               // 000000008B80: D1050033 20000D81
	v_mul_f32_e64 v52, -v130, s6                               // 000000008B88: D1050034 20000D82
	v_mul_f32_e64 v53, -v131, s6                               // 000000008B90: D1050035 20000D83
	v_exp_f32_e32 v50, v50                                     // 000000008B98: 7E644132
	v_exp_f32_e32 v51, v51                                     // 000000008B9C: 7E664133
	v_exp_f32_e32 v52, v52                                     // 000000008BA0: 7E684134
	v_exp_f32_e32 v53, v53                                     // 000000008BA4: 7E6A4135
	buffer_load_dwordx4 a[4:7], v41, s[12:15], 0 offen         // 000000008BA8: E05C1000 80830429
	v_add_f32_e64 v50, v50, 1.0                                // 000000008BB0: D1010032 0001E532
	v_add_f32_e64 v51, v51, 1.0                                // 000000008BB8: D1010033 0001E533
	v_add_f32_e64 v52, v52, 1.0                                // 000000008BC0: D1010034 0001E534
	v_add_f32_e64 v53, v53, 1.0                                // 000000008BC8: D1010035 0001E535
	v_rcp_f32_e32 v50, v50                                     // 000000008BD0: 7E644532
	v_rcp_f32_e32 v51, v51                                     // 000000008BD4: 7E664533
	v_rcp_f32_e32 v52, v52                                     // 000000008BD8: 7E684534
	v_rcp_f32_e32 v53, v53                                     // 000000008BDC: 7E6A4535
	v_mul_f32_e32 v128, v128, v50                              // 000000008BE0: 0B006580
	v_mul_f32_e32 v129, v129, v51                              // 000000008BE4: 0B026781
	v_mul_f32_e32 v130, v130, v52                              // 000000008BE8: 0B046982
	v_mul_f32_e32 v131, v131, v53                              // 000000008BEC: 0B066B83
	v_mul_f32_e32 v128, v128, v64                              // 000000008BF0: 0B008180
	v_mul_f32_e32 v129, v129, v65                              // 000000008BF4: 0B028381
	v_mul_f32_e32 v130, v130, v66                              // 000000008BF8: 0B048582
	v_mul_f32_e32 v131, v131, v67                              // 000000008BFC: 0B068783
	buffer_load_dwordx4 a[8:11], v42, s[12:15], 0 offen        // 000000008C00: E05C1000 8083082A
	v_mul_f32_e64 v50, -v132, s6                               // 000000008C08: D1050032 20000D84
	v_mul_f32_e64 v51, -v133, s6                               // 000000008C10: D1050033 20000D85
	v_mul_f32_e64 v52, -v134, s6                               // 000000008C18: D1050034 20000D86
	v_mul_f32_e64 v53, -v135, s6                               // 000000008C20: D1050035 20000D87
	v_exp_f32_e32 v50, v50                                     // 000000008C28: 7E644132
	v_exp_f32_e32 v51, v51                                     // 000000008C2C: 7E664133
	v_exp_f32_e32 v52, v52                                     // 000000008C30: 7E684134
	v_exp_f32_e32 v53, v53                                     // 000000008C34: 7E6A4135
	buffer_load_dwordx4 a[12:15], v43, s[12:15], 0 offen       // 000000008C38: E05C1000 80830C2B
	s_add_u32 s12, s78, s12                                    // 000000008C40: 800C0C4E
	s_addc_u32 s13, 0, s13                                     // 000000008C44: 820D0D80
	v_add_f32_e64 v50, v50, 1.0                                // 000000008C48: D1010032 0001E532
	v_add_f32_e64 v51, v51, 1.0                                // 000000008C50: D1010033 0001E533
	v_add_f32_e64 v52, v52, 1.0                                // 000000008C58: D1010034 0001E534
	v_add_f32_e64 v53, v53, 1.0                                // 000000008C60: D1010035 0001E535
	v_rcp_f32_e32 v50, v50                                     // 000000008C68: 7E644532
	v_rcp_f32_e32 v51, v51                                     // 000000008C6C: 7E664533
	v_rcp_f32_e32 v52, v52                                     // 000000008C70: 7E684534
	v_rcp_f32_e32 v53, v53                                     // 000000008C74: 7E6A4535
	v_mul_f32_e32 v132, v132, v50                              // 000000008C78: 0B086584
	v_mul_f32_e32 v133, v133, v51                              // 000000008C7C: 0B0A6785
	v_mul_f32_e32 v134, v134, v52                              // 000000008C80: 0B0C6986
	v_mul_f32_e32 v135, v135, v53                              // 000000008C84: 0B0E6B87
	v_mul_f32_e32 v132, v132, v68                              // 000000008C88: 0B088984
	v_mul_f32_e32 v133, v133, v69                              // 000000008C8C: 0B0A8B85
	v_mul_f32_e32 v134, v134, v70                              // 000000008C90: 0B0C8D86
	v_mul_f32_e32 v135, v135, v71                              // 000000008C94: 0B0E8F87
	s_waitcnt vmcnt(20)                                        // 000000008C98: BF8C4F74
	buffer_load_dwordx4 a[16:19], v40, s[12:15], 0 offen       // 000000008C9C: E05C1000 80831028
	v_mul_f32_e64 v50, -v136, s6                               // 000000008CA4: D1050032 20000D88
	v_mul_f32_e64 v51, -v137, s6                               // 000000008CAC: D1050033 20000D89
	v_mul_f32_e64 v52, -v138, s6                               // 000000008CB4: D1050034 20000D8A
	v_mul_f32_e64 v53, -v139, s6                               // 000000008CBC: D1050035 20000D8B
	v_exp_f32_e32 v50, v50                                     // 000000008CC4: 7E644132
	v_exp_f32_e32 v51, v51                                     // 000000008CC8: 7E664133
	v_exp_f32_e32 v52, v52                                     // 000000008CCC: 7E684134
	v_exp_f32_e32 v53, v53                                     // 000000008CD0: 7E6A4135
	buffer_load_dwordx4 a[20:23], v41, s[12:15], 0 offen       // 000000008CD4: E05C1000 80831429
	v_add_f32_e64 v50, v50, 1.0                                // 000000008CDC: D1010032 0001E532
	v_add_f32_e64 v51, v51, 1.0                                // 000000008CE4: D1010033 0001E533
	v_add_f32_e64 v52, v52, 1.0                                // 000000008CEC: D1010034 0001E534
	v_add_f32_e64 v53, v53, 1.0                                // 000000008CF4: D1010035 0001E535
	v_rcp_f32_e32 v50, v50                                     // 000000008CFC: 7E644532
	v_rcp_f32_e32 v51, v51                                     // 000000008D00: 7E664533
	v_rcp_f32_e32 v52, v52                                     // 000000008D04: 7E684534
	v_rcp_f32_e32 v53, v53                                     // 000000008D08: 7E6A4535
	v_mul_f32_e32 v136, v136, v50                              // 000000008D0C: 0B106588
	v_mul_f32_e32 v137, v137, v51                              // 000000008D10: 0B126789
	v_mul_f32_e32 v138, v138, v52                              // 000000008D14: 0B14698A
	v_mul_f32_e32 v139, v139, v53                              // 000000008D18: 0B166B8B
	v_mul_f32_e32 v136, v136, v72                              // 000000008D1C: 0B109188
	v_mul_f32_e32 v137, v137, v73                              // 000000008D20: 0B129389
	v_mul_f32_e32 v138, v138, v74                              // 000000008D24: 0B14958A
	v_mul_f32_e32 v139, v139, v75                              // 000000008D28: 0B16978B
	buffer_load_dwordx4 a[24:27], v42, s[12:15], 0 offen       // 000000008D2C: E05C1000 8083182A
	v_mul_f32_e64 v50, -v140, s6                               // 000000008D34: D1050032 20000D8C
	v_mul_f32_e64 v51, -v141, s6                               // 000000008D3C: D1050033 20000D8D
	v_mul_f32_e64 v52, -v142, s6                               // 000000008D44: D1050034 20000D8E
	v_mul_f32_e64 v53, -v143, s6                               // 000000008D4C: D1050035 20000D8F
	v_exp_f32_e32 v50, v50                                     // 000000008D54: 7E644132
	v_exp_f32_e32 v51, v51                                     // 000000008D58: 7E664133
	v_exp_f32_e32 v52, v52                                     // 000000008D5C: 7E684134
	v_exp_f32_e32 v53, v53                                     // 000000008D60: 7E6A4135
	buffer_load_dwordx4 a[28:31], v43, s[12:15], 0 offen       // 000000008D64: E05C1000 80831C2B
	s_add_u32 s12, s78, s12                                    // 000000008D6C: 800C0C4E
	s_addc_u32 s13, 0, s13                                     // 000000008D70: 820D0D80
	v_add_f32_e64 v50, v50, 1.0                                // 000000008D74: D1010032 0001E532
	v_add_f32_e64 v51, v51, 1.0                                // 000000008D7C: D1010033 0001E533
	v_add_f32_e64 v52, v52, 1.0                                // 000000008D84: D1010034 0001E534
	v_add_f32_e64 v53, v53, 1.0                                // 000000008D8C: D1010035 0001E535
	v_rcp_f32_e32 v50, v50                                     // 000000008D94: 7E644532
	v_rcp_f32_e32 v51, v51                                     // 000000008D98: 7E664533
	v_rcp_f32_e32 v52, v52                                     // 000000008D9C: 7E684534
	v_rcp_f32_e32 v53, v53                                     // 000000008DA0: 7E6A4535
	v_mul_f32_e32 v140, v140, v50                              // 000000008DA4: 0B18658C
	v_mul_f32_e32 v141, v141, v51                              // 000000008DA8: 0B1A678D
	v_mul_f32_e32 v142, v142, v52                              // 000000008DAC: 0B1C698E
	v_mul_f32_e32 v143, v143, v53                              // 000000008DB0: 0B1E6B8F
	v_mul_f32_e32 v140, v140, v76                              // 000000008DB4: 0B18998C
	v_mul_f32_e32 v141, v141, v77                              // 000000008DB8: 0B1A9B8D
	v_mul_f32_e32 v142, v142, v78                              // 000000008DBC: 0B1C9D8E
	v_mul_f32_e32 v143, v143, v79                              // 000000008DC0: 0B1E9F8F
	s_waitcnt vmcnt(20)                                        // 000000008DC4: BF8C4F74
	buffer_load_dwordx4 a[32:35], v40, s[12:15], 0 offen       // 000000008DC8: E05C1000 80832028
	v_mul_f32_e64 v50, -v144, s6                               // 000000008DD0: D1050032 20000D90
	v_mul_f32_e64 v51, -v145, s6                               // 000000008DD8: D1050033 20000D91
	v_mul_f32_e64 v52, -v146, s6                               // 000000008DE0: D1050034 20000D92
	v_mul_f32_e64 v53, -v147, s6                               // 000000008DE8: D1050035 20000D93
	v_exp_f32_e32 v50, v50                                     // 000000008DF0: 7E644132
	v_exp_f32_e32 v51, v51                                     // 000000008DF4: 7E664133
	v_exp_f32_e32 v52, v52                                     // 000000008DF8: 7E684134
	v_exp_f32_e32 v53, v53                                     // 000000008DFC: 7E6A4135
	buffer_load_dwordx4 a[36:39], v41, s[12:15], 0 offen       // 000000008E00: E05C1000 80832429
	v_add_f32_e64 v50, v50, 1.0                                // 000000008E08: D1010032 0001E532
	v_add_f32_e64 v51, v51, 1.0                                // 000000008E10: D1010033 0001E533
	v_add_f32_e64 v52, v52, 1.0                                // 000000008E18: D1010034 0001E534
	v_add_f32_e64 v53, v53, 1.0                                // 000000008E20: D1010035 0001E535
	v_rcp_f32_e32 v50, v50                                     // 000000008E28: 7E644532
	v_rcp_f32_e32 v51, v51                                     // 000000008E2C: 7E664533
	v_rcp_f32_e32 v52, v52                                     // 000000008E30: 7E684534
	v_rcp_f32_e32 v53, v53                                     // 000000008E34: 7E6A4535
	v_mul_f32_e32 v144, v144, v50                              // 000000008E38: 0B206590
	v_mul_f32_e32 v145, v145, v51                              // 000000008E3C: 0B226791
	v_mul_f32_e32 v146, v146, v52                              // 000000008E40: 0B246992
	v_mul_f32_e32 v147, v147, v53                              // 000000008E44: 0B266B93
	v_mul_f32_e32 v144, v144, v80                              // 000000008E48: 0B20A190
	v_mul_f32_e32 v145, v145, v81                              // 000000008E4C: 0B22A391
	v_mul_f32_e32 v146, v146, v82                              // 000000008E50: 0B24A592
	v_mul_f32_e32 v147, v147, v83                              // 000000008E54: 0B26A793
	buffer_load_dwordx4 a[40:43], v42, s[12:15], 0 offen       // 000000008E58: E05C1000 8083282A
	v_mul_f32_e64 v50, -v148, s6                               // 000000008E60: D1050032 20000D94
	v_mul_f32_e64 v51, -v149, s6                               // 000000008E68: D1050033 20000D95
	v_mul_f32_e64 v52, -v150, s6                               // 000000008E70: D1050034 20000D96
	v_mul_f32_e64 v53, -v151, s6                               // 000000008E78: D1050035 20000D97
	v_exp_f32_e32 v50, v50                                     // 000000008E80: 7E644132
	v_exp_f32_e32 v51, v51                                     // 000000008E84: 7E664133
	v_exp_f32_e32 v52, v52                                     // 000000008E88: 7E684134
	v_exp_f32_e32 v53, v53                                     // 000000008E8C: 7E6A4135
	buffer_load_dwordx4 a[44:47], v43, s[12:15], 0 offen       // 000000008E90: E05C1000 80832C2B
	s_add_u32 s12, s78, s12                                    // 000000008E98: 800C0C4E
	s_addc_u32 s13, 0, s13                                     // 000000008E9C: 820D0D80
	v_add_f32_e64 v50, v50, 1.0                                // 000000008EA0: D1010032 0001E532
	v_add_f32_e64 v51, v51, 1.0                                // 000000008EA8: D1010033 0001E533
	v_add_f32_e64 v52, v52, 1.0                                // 000000008EB0: D1010034 0001E534
	v_add_f32_e64 v53, v53, 1.0                                // 000000008EB8: D1010035 0001E535
	v_rcp_f32_e32 v50, v50                                     // 000000008EC0: 7E644532
	v_rcp_f32_e32 v51, v51                                     // 000000008EC4: 7E664533
	v_rcp_f32_e32 v52, v52                                     // 000000008EC8: 7E684534
	v_rcp_f32_e32 v53, v53                                     // 000000008ECC: 7E6A4535
	v_mul_f32_e32 v148, v148, v50                              // 000000008ED0: 0B286594
	v_mul_f32_e32 v149, v149, v51                              // 000000008ED4: 0B2A6795
	v_mul_f32_e32 v150, v150, v52                              // 000000008ED8: 0B2C6996
	v_mul_f32_e32 v151, v151, v53                              // 000000008EDC: 0B2E6B97
	v_mul_f32_e32 v148, v148, v84                              // 000000008EE0: 0B28A994
	v_mul_f32_e32 v149, v149, v85                              // 000000008EE4: 0B2AAB95
	v_mul_f32_e32 v150, v150, v86                              // 000000008EE8: 0B2CAD96
	v_mul_f32_e32 v151, v151, v87                              // 000000008EEC: 0B2EAF97
	s_waitcnt vmcnt(20)                                        // 000000008EF0: BF8C4F74
	buffer_load_dwordx4 a[48:51], v40, s[12:15], 0 offen       // 000000008EF4: E05C1000 80833028
	v_mul_f32_e64 v50, -v152, s6                               // 000000008EFC: D1050032 20000D98
	v_mul_f32_e64 v51, -v153, s6                               // 000000008F04: D1050033 20000D99
	v_mul_f32_e64 v52, -v154, s6                               // 000000008F0C: D1050034 20000D9A
	v_mul_f32_e64 v53, -v155, s6                               // 000000008F14: D1050035 20000D9B
	v_exp_f32_e32 v50, v50                                     // 000000008F1C: 7E644132
	v_exp_f32_e32 v51, v51                                     // 000000008F20: 7E664133
	v_exp_f32_e32 v52, v52                                     // 000000008F24: 7E684134
	v_exp_f32_e32 v53, v53                                     // 000000008F28: 7E6A4135
	buffer_load_dwordx4 a[52:55], v41, s[12:15], 0 offen       // 000000008F2C: E05C1000 80833429
	v_add_f32_e64 v50, v50, 1.0                                // 000000008F34: D1010032 0001E532
	v_add_f32_e64 v51, v51, 1.0                                // 000000008F3C: D1010033 0001E533
	v_add_f32_e64 v52, v52, 1.0                                // 000000008F44: D1010034 0001E534
	v_add_f32_e64 v53, v53, 1.0                                // 000000008F4C: D1010035 0001E535
	v_rcp_f32_e32 v50, v50                                     // 000000008F54: 7E644532
	v_rcp_f32_e32 v51, v51                                     // 000000008F58: 7E664533
	v_rcp_f32_e32 v52, v52                                     // 000000008F5C: 7E684534
	v_rcp_f32_e32 v53, v53                                     // 000000008F60: 7E6A4535
	v_mul_f32_e32 v152, v152, v50                              // 000000008F64: 0B306598
	v_mul_f32_e32 v153, v153, v51                              // 000000008F68: 0B326799
	v_mul_f32_e32 v154, v154, v52                              // 000000008F6C: 0B34699A
	v_mul_f32_e32 v155, v155, v53                              // 000000008F70: 0B366B9B
	v_mul_f32_e32 v152, v152, v88                              // 000000008F74: 0B30B198
	v_mul_f32_e32 v153, v153, v89                              // 000000008F78: 0B32B399
	v_mul_f32_e32 v154, v154, v90                              // 000000008F7C: 0B34B59A
	v_mul_f32_e32 v155, v155, v91                              // 000000008F80: 0B36B79B
	buffer_load_dwordx4 a[56:59], v42, s[12:15], 0 offen       // 000000008F84: E05C1000 8083382A
	v_mul_f32_e64 v50, -v156, s6                               // 000000008F8C: D1050032 20000D9C
	v_mul_f32_e64 v51, -v157, s6                               // 000000008F94: D1050033 20000D9D
	v_mul_f32_e64 v52, -v158, s6                               // 000000008F9C: D1050034 20000D9E
	v_mul_f32_e64 v53, -v159, s6                               // 000000008FA4: D1050035 20000D9F
	v_exp_f32_e32 v50, v50                                     // 000000008FAC: 7E644132
	v_exp_f32_e32 v51, v51                                     // 000000008FB0: 7E664133
	v_exp_f32_e32 v52, v52                                     // 000000008FB4: 7E684134
	v_exp_f32_e32 v53, v53                                     // 000000008FB8: 7E6A4135
	buffer_load_dwordx4 a[60:63], v43, s[12:15], 0 offen       // 000000008FBC: E05C1000 80833C2B
	s_add_u32 s12, s78, s12                                    // 000000008FC4: 800C0C4E
	s_addc_u32 s13, 0, s13                                     // 000000008FC8: 820D0D80
	v_add_f32_e64 v50, v50, 1.0                                // 000000008FCC: D1010032 0001E532
	v_add_f32_e64 v51, v51, 1.0                                // 000000008FD4: D1010033 0001E533
	v_add_f32_e64 v52, v52, 1.0                                // 000000008FDC: D1010034 0001E534
	v_add_f32_e64 v53, v53, 1.0                                // 000000008FE4: D1010035 0001E535
	v_rcp_f32_e32 v50, v50                                     // 000000008FEC: 7E644532
	v_rcp_f32_e32 v51, v51                                     // 000000008FF0: 7E664533
	v_rcp_f32_e32 v52, v52                                     // 000000008FF4: 7E684534
	v_rcp_f32_e32 v53, v53                                     // 000000008FF8: 7E6A4535
	v_mul_f32_e32 v156, v156, v50                              // 000000008FFC: 0B38659C
	v_mul_f32_e32 v157, v157, v51                              // 000000009000: 0B3A679D
	v_mul_f32_e32 v158, v158, v52                              // 000000009004: 0B3C699E
	v_mul_f32_e32 v159, v159, v53                              // 000000009008: 0B3E6B9F
	v_mul_f32_e32 v156, v156, v92                              // 00000000900C: 0B38B99C
	v_mul_f32_e32 v157, v157, v93                              // 000000009010: 0B3ABB9D
	v_mul_f32_e32 v158, v158, v94                              // 000000009014: 0B3CBD9E
	v_mul_f32_e32 v159, v159, v95                              // 000000009018: 0B3EBF9F
	s_waitcnt vmcnt(20)                                        // 00000000901C: BF8C4F74
	buffer_load_dwordx4 a[64:67], v40, s[12:15], 0 offen       // 000000009020: E05C1000 80834028
	v_mul_f32_e64 v50, -v160, s6                               // 000000009028: D1050032 20000DA0
	v_mul_f32_e64 v51, -v161, s6                               // 000000009030: D1050033 20000DA1
	v_mul_f32_e64 v52, -v162, s6                               // 000000009038: D1050034 20000DA2
	v_mul_f32_e64 v53, -v163, s6                               // 000000009040: D1050035 20000DA3
	v_exp_f32_e32 v50, v50                                     // 000000009048: 7E644132
	v_exp_f32_e32 v51, v51                                     // 00000000904C: 7E664133
	v_exp_f32_e32 v52, v52                                     // 000000009050: 7E684134
	v_exp_f32_e32 v53, v53                                     // 000000009054: 7E6A4135
	buffer_load_dwordx4 a[68:71], v41, s[12:15], 0 offen       // 000000009058: E05C1000 80834429
	v_add_f32_e64 v50, v50, 1.0                                // 000000009060: D1010032 0001E532
	v_add_f32_e64 v51, v51, 1.0                                // 000000009068: D1010033 0001E533
	v_add_f32_e64 v52, v52, 1.0                                // 000000009070: D1010034 0001E534
	v_add_f32_e64 v53, v53, 1.0                                // 000000009078: D1010035 0001E535
	v_rcp_f32_e32 v50, v50                                     // 000000009080: 7E644532
	v_rcp_f32_e32 v51, v51                                     // 000000009084: 7E664533
	v_rcp_f32_e32 v52, v52                                     // 000000009088: 7E684534
	v_rcp_f32_e32 v53, v53                                     // 00000000908C: 7E6A4535
	v_mul_f32_e32 v160, v160, v50                              // 000000009090: 0B4065A0
	v_mul_f32_e32 v161, v161, v51                              // 000000009094: 0B4267A1
	v_mul_f32_e32 v162, v162, v52                              // 000000009098: 0B4469A2
	v_mul_f32_e32 v163, v163, v53                              // 00000000909C: 0B466BA3
	v_mul_f32_e32 v160, v160, v96                              // 0000000090A0: 0B40C1A0
	v_mul_f32_e32 v161, v161, v97                              // 0000000090A4: 0B42C3A1
	v_mul_f32_e32 v162, v162, v98                              // 0000000090A8: 0B44C5A2
	v_mul_f32_e32 v163, v163, v99                              // 0000000090AC: 0B46C7A3
	buffer_load_dwordx4 a[72:75], v42, s[12:15], 0 offen       // 0000000090B0: E05C1000 8083482A
	v_mul_f32_e64 v50, -v164, s6                               // 0000000090B8: D1050032 20000DA4
	v_mul_f32_e64 v51, -v165, s6                               // 0000000090C0: D1050033 20000DA5
	v_mul_f32_e64 v52, -v166, s6                               // 0000000090C8: D1050034 20000DA6
	v_mul_f32_e64 v53, -v167, s6                               // 0000000090D0: D1050035 20000DA7
	v_exp_f32_e32 v50, v50                                     // 0000000090D8: 7E644132
	v_exp_f32_e32 v51, v51                                     // 0000000090DC: 7E664133
	v_exp_f32_e32 v52, v52                                     // 0000000090E0: 7E684134
	v_exp_f32_e32 v53, v53                                     // 0000000090E4: 7E6A4135
	buffer_load_dwordx4 a[76:79], v43, s[12:15], 0 offen       // 0000000090E8: E05C1000 80834C2B
	s_add_u32 s12, s78, s12                                    // 0000000090F0: 800C0C4E
	s_addc_u32 s13, 0, s13                                     // 0000000090F4: 820D0D80
	v_add_f32_e64 v50, v50, 1.0                                // 0000000090F8: D1010032 0001E532
	v_add_f32_e64 v51, v51, 1.0                                // 000000009100: D1010033 0001E533
	v_add_f32_e64 v52, v52, 1.0                                // 000000009108: D1010034 0001E534
	v_add_f32_e64 v53, v53, 1.0                                // 000000009110: D1010035 0001E535
	v_rcp_f32_e32 v50, v50                                     // 000000009118: 7E644532
	v_rcp_f32_e32 v51, v51                                     // 00000000911C: 7E664533
	v_rcp_f32_e32 v52, v52                                     // 000000009120: 7E684534
	v_rcp_f32_e32 v53, v53                                     // 000000009124: 7E6A4535
	v_mul_f32_e32 v164, v164, v50                              // 000000009128: 0B4865A4
	v_mul_f32_e32 v165, v165, v51                              // 00000000912C: 0B4A67A5
	v_mul_f32_e32 v166, v166, v52                              // 000000009130: 0B4C69A6
	v_mul_f32_e32 v167, v167, v53                              // 000000009134: 0B4E6BA7
	v_mul_f32_e32 v164, v164, v100                             // 000000009138: 0B48C9A4
	v_mul_f32_e32 v165, v165, v101                             // 00000000913C: 0B4ACBA5
	v_mul_f32_e32 v166, v166, v102                             // 000000009140: 0B4CCDA6
	v_mul_f32_e32 v167, v167, v103                             // 000000009144: 0B4ECFA7
	s_waitcnt vmcnt(20)                                        // 000000009148: BF8C4F74
	buffer_load_dwordx4 a[80:83], v40, s[12:15], 0 offen       // 00000000914C: E05C1000 80835028
	v_mul_f32_e64 v50, -v168, s6                               // 000000009154: D1050032 20000DA8
	v_mul_f32_e64 v51, -v169, s6                               // 00000000915C: D1050033 20000DA9
	v_mul_f32_e64 v52, -v170, s6                               // 000000009164: D1050034 20000DAA
	v_mul_f32_e64 v53, -v171, s6                               // 00000000916C: D1050035 20000DAB
	v_exp_f32_e32 v50, v50                                     // 000000009174: 7E644132
	v_exp_f32_e32 v51, v51                                     // 000000009178: 7E664133
	v_exp_f32_e32 v52, v52                                     // 00000000917C: 7E684134
	v_exp_f32_e32 v53, v53                                     // 000000009180: 7E6A4135
	buffer_load_dwordx4 a[84:87], v41, s[12:15], 0 offen       // 000000009184: E05C1000 80835429
	v_add_f32_e64 v50, v50, 1.0                                // 00000000918C: D1010032 0001E532
	v_add_f32_e64 v51, v51, 1.0                                // 000000009194: D1010033 0001E533
	v_add_f32_e64 v52, v52, 1.0                                // 00000000919C: D1010034 0001E534
	v_add_f32_e64 v53, v53, 1.0                                // 0000000091A4: D1010035 0001E535
	v_rcp_f32_e32 v50, v50                                     // 0000000091AC: 7E644532
	v_rcp_f32_e32 v51, v51                                     // 0000000091B0: 7E664533
	v_rcp_f32_e32 v52, v52                                     // 0000000091B4: 7E684534
	v_rcp_f32_e32 v53, v53                                     // 0000000091B8: 7E6A4535
	v_mul_f32_e32 v168, v168, v50                              // 0000000091BC: 0B5065A8
	v_mul_f32_e32 v169, v169, v51                              // 0000000091C0: 0B5267A9
	v_mul_f32_e32 v170, v170, v52                              // 0000000091C4: 0B5469AA
	v_mul_f32_e32 v171, v171, v53                              // 0000000091C8: 0B566BAB
	v_mul_f32_e32 v168, v168, v104                             // 0000000091CC: 0B50D1A8
	v_mul_f32_e32 v169, v169, v105                             // 0000000091D0: 0B52D3A9
	v_mul_f32_e32 v170, v170, v106                             // 0000000091D4: 0B54D5AA
	v_mul_f32_e32 v171, v171, v107                             // 0000000091D8: 0B56D7AB
	buffer_load_dwordx4 a[88:91], v42, s[12:15], 0 offen       // 0000000091DC: E05C1000 8083582A
	v_mul_f32_e64 v50, -v172, s6                               // 0000000091E4: D1050032 20000DAC
	v_mul_f32_e64 v51, -v173, s6                               // 0000000091EC: D1050033 20000DAD
	v_mul_f32_e64 v52, -v174, s6                               // 0000000091F4: D1050034 20000DAE
	v_mul_f32_e64 v53, -v175, s6                               // 0000000091FC: D1050035 20000DAF
	v_exp_f32_e32 v50, v50                                     // 000000009204: 7E644132
	v_exp_f32_e32 v51, v51                                     // 000000009208: 7E664133
	v_exp_f32_e32 v52, v52                                     // 00000000920C: 7E684134
	v_exp_f32_e32 v53, v53                                     // 000000009210: 7E6A4135
	buffer_load_dwordx4 a[92:95], v43, s[12:15], 0 offen       // 000000009214: E05C1000 80835C2B
	v_add_f32_e64 v50, v50, 1.0                                // 00000000921C: D1010032 0001E532
	v_add_f32_e64 v51, v51, 1.0                                // 000000009224: D1010033 0001E533
	v_add_f32_e64 v52, v52, 1.0                                // 00000000922C: D1010034 0001E534
	v_add_f32_e64 v53, v53, 1.0                                // 000000009234: D1010035 0001E535
	v_rcp_f32_e32 v50, v50                                     // 00000000923C: 7E644532
	v_rcp_f32_e32 v51, v51                                     // 000000009240: 7E664533
	v_rcp_f32_e32 v52, v52                                     // 000000009244: 7E684534
	v_rcp_f32_e32 v53, v53                                     // 000000009248: 7E6A4535
	v_mul_f32_e32 v172, v172, v50                              // 00000000924C: 0B5865AC
	v_mul_f32_e32 v173, v173, v51                              // 000000009250: 0B5A67AD
	v_mul_f32_e32 v174, v174, v52                              // 000000009254: 0B5C69AE
	v_mul_f32_e32 v175, v175, v53                              // 000000009258: 0B5E6BAF
	v_mul_f32_e32 v172, v172, v108                             // 00000000925C: 0B58D9AC
	v_mul_f32_e32 v173, v173, v109                             // 000000009260: 0B5ADBAD
	v_mul_f32_e32 v174, v174, v110                             // 000000009264: 0B5CDDAE
	v_mul_f32_e32 v175, v175, v111                             // 000000009268: 0B5EDFAF
	v_lshlrev_b32_e32 v50, 2, v0                               // 00000000926C: 24640082
	s_mul_i32 s60, s82, s71                                    // 000000009270: 923C4752
	v_add_u32_e64 v80, v50, s60                                // 000000009274: D1340050 00007932
	v_mov_b32_e32 v81, 0                                       // 00000000927C: 7EA20280
	s_mul_i32 s60, s83, s71                                    // 000000009280: 923C4753
	v_add_u32_e64 v82, v50, s60                                // 000000009284: D1340052 00007932
	v_mov_b32_e32 v83, 0                                       // 00000000928C: 7EA60280
	s_mul_i32 s60, s84, s71                                    // 000000009290: 923C4754
	v_add_u32_e64 v84, v50, s60                                // 000000009294: D1340054 00007932
	v_mov_b32_e32 v85, 0                                       // 00000000929C: 7EAA0280
	s_mul_i32 s60, s85, s71                                    // 0000000092A0: 923C4755
	v_add_u32_e64 v86, v50, s60                                // 0000000092A4: D1340056 00007932
	v_mov_b32_e32 v87, 0                                       // 0000000092AC: 7EAE0280
	s_mul_i32 s60, s86, s71                                    // 0000000092B0: 923C4756
	v_add_u32_e64 v88, v50, s60                                // 0000000092B4: D1340058 00007932
	v_mov_b32_e32 v89, 0                                       // 0000000092BC: 7EB20280
	s_mul_i32 s60, s87, s71                                    // 0000000092C0: 923C4757
	v_add_u32_e64 v90, v50, s60                                // 0000000092C4: D134005A 00007932
	v_mov_b32_e32 v91, 0                                       // 0000000092CC: 7EB60280
	s_mul_i32 s60, s88, s71                                    // 0000000092D0: 923C4758
	v_add_u32_e64 v92, v50, s60                                // 0000000092D4: D134005C 00007932
	v_mov_b32_e32 v93, 0                                       // 0000000092DC: 7EBA0280
	s_mul_i32 s60, s89, s71                                    // 0000000092E0: 923C4759
	v_add_u32_e64 v94, v50, s60                                // 0000000092E4: D134005E 00007932
	v_mov_b32_e32 v95, 0                                       // 0000000092EC: 7EBE0280
	buffer_load_dword v12, v5, s[16:19], 0 offen               // 0000000092F0: E0501000 80040C05
	v_mov_b32_e32 v22, 0x358637bd                              // 0000000092F8: 7E2C02FF 358637BD
	v_mov_b32_e32 v23, 0x358637bd                              // 000000009300: 7E2E02FF 358637BD
	v_max3_f32 v22, |v128|, |v129|, v22                        // 000000009308: D1D30316 045B0380
	v_max3_f32 v22, |v130|, |v131|, v22                        // 000000009310: D1D30316 045B0782
	v_max3_f32 v23, |v132|, |v133|, v23                        // 000000009318: D1D30317 045F0B84
	v_max3_f32 v23, |v134|, |v135|, v23                        // 000000009320: D1D30317 045F0F86
	v_max3_f32 v22, |v136|, |v137|, v22                        // 000000009328: D1D30316 045B1388
	v_max3_f32 v22, |v138|, |v139|, v22                        // 000000009330: D1D30316 045B178A
	v_max3_f32 v23, |v140|, |v141|, v23                        // 000000009338: D1D30317 045F1B8C
	v_max3_f32 v23, |v142|, |v143|, v23                        // 000000009340: D1D30317 045F1F8E
	v_max3_f32 v22, |v144|, |v145|, v22                        // 000000009348: D1D30316 045B2390
	v_max3_f32 v22, |v146|, |v147|, v22                        // 000000009350: D1D30316 045B2792
	v_max3_f32 v23, |v148|, |v149|, v23                        // 000000009358: D1D30317 045F2B94
	v_max3_f32 v23, |v150|, |v151|, v23                        // 000000009360: D1D30317 045F2F96
	v_max3_f32 v22, |v152|, |v153|, v22                        // 000000009368: D1D30316 045B3398
	v_max3_f32 v22, |v154|, |v155|, v22                        // 000000009370: D1D30316 045B379A
	v_max3_f32 v23, |v156|, |v157|, v23                        // 000000009378: D1D30317 045F3B9C
	v_max3_f32 v23, |v158|, |v159|, v23                        // 000000009380: D1D30317 045F3F9E
	v_max3_f32 v22, |v160|, |v161|, v22                        // 000000009388: D1D30316 045B43A0
	v_max3_f32 v22, |v162|, |v163|, v22                        // 000000009390: D1D30316 045B47A2
	v_max3_f32 v23, |v164|, |v165|, v23                        // 000000009398: D1D30317 045F4BA4
	v_max3_f32 v23, |v166|, |v167|, v23                        // 0000000093A0: D1D30317 045F4FA6
	v_max3_f32 v22, |v168|, |v169|, v22                        // 0000000093A8: D1D30316 045B53A8
	v_max3_f32 v22, |v170|, |v171|, v22                        // 0000000093B0: D1D30316 045B57AA
	v_max3_f32 v23, |v172|, |v173|, v23                        // 0000000093B8: D1D30317 045F5BAC
	v_max3_f32 v23, |v174|, |v175|, v23                        // 0000000093C0: D1D30317 045F5FAE
	v_lshlrev_b32_e32 v50, 3, v0                               // 0000000093C8: 24640083
	s_mul_i32 s60, 0x200, s7                                   // 0000000093CC: 923C07FF 00000200
	v_add_u32_e32 v50, s60, v50                                // 0000000093D4: 6864643C
	ds_write_b64 v50, v[22:23] offset:16640                    // 0000000093D8: D89A4100 00001632
	s_waitcnt lgkmcnt(0)                                       // 0000000093E0: BF8CC07F
	s_barrier                                                  // 0000000093E4: BF8A0000
	v_and_b32_e32 v50, 15, v0                                  // 0000000093E8: 2664008F
	v_lshlrev_b32_e32 v50, 3, v50                              // 0000000093EC: 24646483
	ds_read_b64 v[96:97], v50 offset:16640                     // 0000000093F0: D8EC4100 60000032
	ds_read_b64 v[98:99], v50 offset:16768                     // 0000000093F8: D8EC4180 62000032
	ds_read_b64 v[100:101], v50 offset:16896                   // 000000009400: D8EC4200 64000032
	ds_read_b64 v[102:103], v50 offset:17024                   // 000000009408: D8EC4280 66000032
	ds_read_b64 v[104:105], v50 offset:17152                   // 000000009410: D8EC4300 68000032
	ds_read_b64 v[106:107], v50 offset:17280                   // 000000009418: D8EC4380 6A000032
	ds_read_b64 v[108:109], v50 offset:17408                   // 000000009420: D8EC4400 6C000032
	ds_read_b64 v[110:111], v50 offset:17536                   // 000000009428: D8EC4480 6E000032
	ds_read_b64 v[112:113], v50 offset:17664                   // 000000009430: D8EC4500 70000032
	ds_read_b64 v[114:115], v50 offset:17792                   // 000000009438: D8EC4580 72000032
	ds_read_b64 v[116:117], v50 offset:17920                   // 000000009440: D8EC4600 74000032
	ds_read_b64 v[118:119], v50 offset:18048                   // 000000009448: D8EC4680 76000032
	ds_read_b64 v[120:121], v50 offset:18176                   // 000000009450: D8EC4700 78000032
	ds_read_b64 v[122:123], v50 offset:18304                   // 000000009458: D8EC4780 7A000032
	ds_read_b64 v[124:125], v50 offset:18432                   // 000000009460: D8EC4800 7C000032
	ds_read_b64 v[126:127], v50 offset:18560                   // 000000009468: D8EC4880 7E000032
	s_waitcnt lgkmcnt(0)                                       // 000000009470: BF8CC07F
	v_max3_f32 v22, |v96|, |v98|, v22                          // 000000009474: D1D30316 045AC560
	v_max3_f32 v23, |v97|, |v99|, v23                          // 00000000947C: D1D30317 045EC761
	v_max3_f32 v22, |v100|, |v102|, v22                        // 000000009484: D1D30316 045ACD64
	v_max3_f32 v23, |v101|, |v103|, v23                        // 00000000948C: D1D30317 045ECF65
	v_max3_f32 v22, |v104|, |v106|, v22                        // 000000009494: D1D30316 045AD568
	v_max3_f32 v23, |v105|, |v107|, v23                        // 00000000949C: D1D30317 045ED769
	v_max3_f32 v22, |v108|, |v110|, v22                        // 0000000094A4: D1D30316 045ADD6C
	v_max3_f32 v23, |v109|, |v111|, v23                        // 0000000094AC: D1D30317 045EDF6D
	v_max3_f32 v22, |v112|, |v114|, v22                        // 0000000094B4: D1D30316 045AE570
	v_max3_f32 v23, |v113|, |v115|, v23                        // 0000000094BC: D1D30317 045EE771
	v_max3_f32 v22, |v116|, |v118|, v22                        // 0000000094C4: D1D30316 045AED74
	v_max3_f32 v23, |v117|, |v119|, v23                        // 0000000094CC: D1D30317 045EEF75
	v_max3_f32 v22, |v120|, |v122|, v22                        // 0000000094D4: D1D30316 045AF578
	v_max3_f32 v23, |v121|, |v123|, v23                        // 0000000094DC: D1D30317 045EF779
	v_max3_f32 v22, |v124|, |v126|, v22                        // 0000000094E4: D1D30316 045AFD7C
	v_max3_f32 v23, |v125|, |v127|, v23                        // 0000000094EC: D1D30317 045EFF7D
	v_rcp_f32_e32 v22, v22                                     // 0000000094F4: 7E2C4516
	v_rcp_f32_e32 v23, v23                                     // 0000000094F8: 7E2E4517
	v_mov_b32_e32 v50, 0x43700000                              // 0000000094FC: 7E6402FF 43700000
	v_mul_f32_e32 v22, v50, v22                                // 000000009504: 0A2C2D32
	v_mul_f32_e32 v23, v50, v23                                // 000000009508: 0A2E2F32
	v_mul_f32_e32 v128, v22, v128                              // 00000000950C: 0B010116
	v_mul_f32_e32 v129, v22, v129                              // 000000009510: 0B030316
	v_mul_f32_e32 v130, v22, v130                              // 000000009514: 0B050516
	v_mul_f32_e32 v131, v22, v131                              // 000000009518: 0B070716
	v_cvt_pk_fp8_f32 v128, v128, v129                          // 00000000951C: D2A20080 00030380
	v_cvt_pk_fp8_f32 v128, v130, v131 op_sel:[0,0,1]           // 000000009524: D2A24080 00030782
	v_mul_f32_e32 v132, v23, v132                              // 00000000952C: 0B090917
	v_mul_f32_e32 v133, v23, v133                              // 000000009530: 0B0B0B17
	v_mul_f32_e32 v134, v23, v134                              // 000000009534: 0B0D0D17
	v_mul_f32_e32 v135, v23, v135                              // 000000009538: 0B0F0F17
	v_cvt_pk_fp8_f32 v129, v132, v133                          // 00000000953C: D2A20081 00030B84
	v_cvt_pk_fp8_f32 v129, v134, v135 op_sel:[0,0,1]           // 000000009544: D2A24081 00030F86
	v_mul_f32_e32 v136, v22, v136                              // 00000000954C: 0B111116
	v_mul_f32_e32 v137, v22, v137                              // 000000009550: 0B131316
	v_mul_f32_e32 v138, v22, v138                              // 000000009554: 0B151516
	v_mul_f32_e32 v139, v22, v139                              // 000000009558: 0B171716
	v_cvt_pk_fp8_f32 v130, v136, v137                          // 00000000955C: D2A20082 00031388
	v_cvt_pk_fp8_f32 v130, v138, v139 op_sel:[0,0,1]           // 000000009564: D2A24082 0003178A
	v_mul_f32_e32 v140, v23, v140                              // 00000000956C: 0B191917
	v_mul_f32_e32 v141, v23, v141                              // 000000009570: 0B1B1B17
	v_mul_f32_e32 v142, v23, v142                              // 000000009574: 0B1D1D17
	v_mul_f32_e32 v143, v23, v143                              // 000000009578: 0B1F1F17
	v_cvt_pk_fp8_f32 v131, v140, v141                          // 00000000957C: D2A20083 00031B8C
	v_cvt_pk_fp8_f32 v131, v142, v143 op_sel:[0,0,1]           // 000000009584: D2A24083 00031F8E
	v_mul_f32_e32 v144, v22, v144                              // 00000000958C: 0B212116
	v_mul_f32_e32 v145, v22, v145                              // 000000009590: 0B232316
	v_mul_f32_e32 v146, v22, v146                              // 000000009594: 0B252516
	v_mul_f32_e32 v147, v22, v147                              // 000000009598: 0B272716
	v_cvt_pk_fp8_f32 v132, v144, v145                          // 00000000959C: D2A20084 00032390
	v_cvt_pk_fp8_f32 v132, v146, v147 op_sel:[0,0,1]           // 0000000095A4: D2A24084 00032792
	v_mul_f32_e32 v148, v23, v148                              // 0000000095AC: 0B292917
	v_mul_f32_e32 v149, v23, v149                              // 0000000095B0: 0B2B2B17
	v_mul_f32_e32 v150, v23, v150                              // 0000000095B4: 0B2D2D17
	v_mul_f32_e32 v151, v23, v151                              // 0000000095B8: 0B2F2F17
	v_cvt_pk_fp8_f32 v133, v148, v149                          // 0000000095BC: D2A20085 00032B94
	v_cvt_pk_fp8_f32 v133, v150, v151 op_sel:[0,0,1]           // 0000000095C4: D2A24085 00032F96
	v_mul_f32_e32 v152, v22, v152                              // 0000000095CC: 0B313116
	v_mul_f32_e32 v153, v22, v153                              // 0000000095D0: 0B333316
	v_mul_f32_e32 v154, v22, v154                              // 0000000095D4: 0B353516
	v_mul_f32_e32 v155, v22, v155                              // 0000000095D8: 0B373716
	v_cvt_pk_fp8_f32 v134, v152, v153                          // 0000000095DC: D2A20086 00033398
	v_cvt_pk_fp8_f32 v134, v154, v155 op_sel:[0,0,1]           // 0000000095E4: D2A24086 0003379A
	v_mul_f32_e32 v156, v23, v156                              // 0000000095EC: 0B393917
	v_mul_f32_e32 v157, v23, v157                              // 0000000095F0: 0B3B3B17
	v_mul_f32_e32 v158, v23, v158                              // 0000000095F4: 0B3D3D17
	v_mul_f32_e32 v159, v23, v159                              // 0000000095F8: 0B3F3F17
	v_cvt_pk_fp8_f32 v135, v156, v157                          // 0000000095FC: D2A20087 00033B9C
	v_cvt_pk_fp8_f32 v135, v158, v159 op_sel:[0,0,1]           // 000000009604: D2A24087 00033F9E
	v_mul_f32_e32 v160, v22, v160                              // 00000000960C: 0B414116
	v_mul_f32_e32 v161, v22, v161                              // 000000009610: 0B434316
	v_mul_f32_e32 v162, v22, v162                              // 000000009614: 0B454516
	v_mul_f32_e32 v163, v22, v163                              // 000000009618: 0B474716
	v_cvt_pk_fp8_f32 v136, v160, v161                          // 00000000961C: D2A20088 000343A0
	v_cvt_pk_fp8_f32 v136, v162, v163 op_sel:[0,0,1]           // 000000009624: D2A24088 000347A2
	v_mul_f32_e32 v164, v23, v164                              // 00000000962C: 0B494917
	v_mul_f32_e32 v165, v23, v165                              // 000000009630: 0B4B4B17
	v_mul_f32_e32 v166, v23, v166                              // 000000009634: 0B4D4D17
	v_mul_f32_e32 v167, v23, v167                              // 000000009638: 0B4F4F17
	v_cvt_pk_fp8_f32 v137, v164, v165                          // 00000000963C: D2A20089 00034BA4
	v_cvt_pk_fp8_f32 v137, v166, v167 op_sel:[0,0,1]           // 000000009644: D2A24089 00034FA6
	v_mul_f32_e32 v168, v22, v168                              // 00000000964C: 0B515116
	v_mul_f32_e32 v169, v22, v169                              // 000000009650: 0B535316
	v_mul_f32_e32 v170, v22, v170                              // 000000009654: 0B555516
	v_mul_f32_e32 v171, v22, v171                              // 000000009658: 0B575716
	v_cvt_pk_fp8_f32 v138, v168, v169                          // 00000000965C: D2A2008A 000353A8
	v_cvt_pk_fp8_f32 v138, v170, v171 op_sel:[0,0,1]           // 000000009664: D2A2408A 000357AA
	v_mul_f32_e32 v172, v23, v172                              // 00000000966C: 0B595917
	v_mul_f32_e32 v173, v23, v173                              // 000000009670: 0B5B5B17
	v_mul_f32_e32 v174, v23, v174                              // 000000009674: 0B5D5D17
	v_mul_f32_e32 v175, v23, v175                              // 000000009678: 0B5F5F17
	v_cvt_pk_fp8_f32 v139, v172, v173                          // 00000000967C: D2A2008B 00035BAC
	v_cvt_pk_fp8_f32 v139, v174, v175 op_sel:[0,0,1]           // 000000009684: D2A2408B 00035FAE
	v_rcp_f32_e32 v24, v22                                     // 00000000968C: 7E304516
	v_rcp_f32_e32 v25, v23                                     // 000000009690: 7E324517
	v_lshrrev_b32_e32 v50, 5, v0                               // 000000009694: 20640085
	v_lshlrev_b32_e32 v51, 5, v50                              // 000000009698: 24666485
	v_and_b32_e32 v50, 31, v0                                  // 00000000969C: 2664009F
	v_lshrrev_b32_e32 v52, 4, v50                              // 0000000096A0: 20686484
	v_add_u32_e32 v51, v52, v51                                // 0000000096A4: 68666734
	v_and_b32_e32 v50, 15, v0                                  // 0000000096A8: 2664008F
	v_lshlrev_b32_e32 v50, 1, v50                              // 0000000096AC: 24646481
	v_add_u32_e32 v51, v50, v51                                // 0000000096B0: 68666732
	v_lshlrev_b32_e32 v50, 2, v51                              // 0000000096B4: 24646682
	s_mul_i32 s60, 0x100, s7                                   // 0000000096B8: 923C07FF 00000100
	v_add_u32_e64 v50, v50, s60                                // 0000000096C0: D1340032 00007932
	ds_write_b32 v50, v128 offset:18688                        // 0000000096C8: D81A4900 00008032
	ds_write_b32 v50, v129 offset:24832                        // 0000000096D0: D81A6100 00008132
	ds_write_b32 v50, v130 offset:19712                        // 0000000096D8: D81A4D00 00008232
	ds_write_b32 v50, v131 offset:25856                        // 0000000096E0: D81A6500 00008332
	ds_write_b32 v50, v132 offset:20736                        // 0000000096E8: D81A5100 00008432
	ds_write_b32 v50, v133 offset:26880                        // 0000000096F0: D81A6900 00008532
	ds_write_b32 v50, v134 offset:21760                        // 0000000096F8: D81A5500 00008632
	ds_write_b32 v50, v135 offset:27904                        // 000000009700: D81A6D00 00008732
	ds_write_b32 v50, v136 offset:22784                        // 000000009708: D81A5900 00008832
	ds_write_b32 v50, v137 offset:28928                        // 000000009710: D81A7100 00008932
	ds_write_b32 v50, v138 offset:23808                        // 000000009718: D81A5D00 00008A32
	ds_write_b32 v50, v139 offset:29952                        // 000000009720: D81A7500 00008B32
	s_waitcnt lgkmcnt(0)                                       // 000000009728: BF8CC07F
	s_barrier                                                  // 00000000972C: BF8A0000
	v_lshrrev_b32_e32 v50, 4, v0                               // 000000009730: 20640084
	v_lshlrev_b32_e32 v51, 6, v50                              // 000000009734: 24666486
	v_and_b32_e32 v50, 15, v0                                  // 000000009738: 2664008F
	v_lshlrev_b32_e32 v50, 1, v50                              // 00000000973C: 24646481
	v_add_u32_e32 v51, v50, v51                                // 000000009740: 68666732
	v_lshlrev_b32_e32 v50, 2, v51                              // 000000009744: 24646682
	ds_read_b64 v[128:129], v50 offset:18688                   // 000000009748: D8EC4900 80000032
	ds_read_b64 v[130:131], v50 offset:18816                   // 000000009750: D8EC4980 82000032
	ds_read_b64 v[132:133], v50 offset:19712                   // 000000009758: D8EC4D00 84000032
	ds_read_b64 v[134:135], v50 offset:19840                   // 000000009760: D8EC4D80 86000032
	ds_read_b64 v[136:137], v50 offset:20736                   // 000000009768: D8EC5100 88000032
	ds_read_b64 v[138:139], v50 offset:20864                   // 000000009770: D8EC5180 8A000032
	ds_read_b64 v[140:141], v50 offset:21760                   // 000000009778: D8EC5500 8C000032
	ds_read_b64 v[142:143], v50 offset:21888                   // 000000009780: D8EC5580 8E000032
	ds_read_b64 v[144:145], v50 offset:22784                   // 000000009788: D8EC5900 90000032
	ds_read_b64 v[146:147], v50 offset:22912                   // 000000009790: D8EC5980 92000032
	ds_read_b64 v[148:149], v50 offset:23808                   // 000000009798: D8EC5D00 94000032
	ds_read_b64 v[150:151], v50 offset:23936                   // 0000000097A0: D8EC5D80 96000032
	ds_read_b64 v[152:153], v50 offset:24832                   // 0000000097A8: D8EC6100 98000032
	ds_read_b64 v[154:155], v50 offset:24960                   // 0000000097B0: D8EC6180 9A000032
	ds_read_b64 v[156:157], v50 offset:25856                   // 0000000097B8: D8EC6500 9C000032
	ds_read_b64 v[158:159], v50 offset:25984                   // 0000000097C0: D8EC6580 9E000032
	ds_read_b64 v[160:161], v50 offset:26880                   // 0000000097C8: D8EC6900 A0000032
	ds_read_b64 v[162:163], v50 offset:27008                   // 0000000097D0: D8EC6980 A2000032
	ds_read_b64 v[164:165], v50 offset:27904                   // 0000000097D8: D8EC6D00 A4000032
	ds_read_b64 v[166:167], v50 offset:28032                   // 0000000097E0: D8EC6D80 A6000032
	ds_read_b64 v[168:169], v50 offset:28928                   // 0000000097E8: D8EC7100 A8000032
	ds_read_b64 v[170:171], v50 offset:29056                   // 0000000097F0: D8EC7180 AA000032
	ds_read_b64 v[172:173], v50 offset:29952                   // 0000000097F8: D8EC7500 AC000032
	ds_read_b64 v[174:175], v50 offset:30080                   // 000000009800: D8EC7580 AE000032
	s_add_u32 s12, s56, s12                                    // 000000009808: 800C0C38
	s_addc_u32 s13, 0, s13                                     // 00000000980C: 820D0D80
	s_add_u32 s16, s79, s16                                    // 000000009810: 8010104F
	s_addc_u32 s17, 0, s17                                     // 000000009814: 82111180
	s_mov_b32 s80, 0                                           // 000000009818: BED00080
	s_waitcnt vmcnt(0) expcnt(0) lgkmcnt(0)                    // 00000000981C: BF8C0000

0000000000009820 <label_1A88>:
	s_waitcnt vmcnt(37)                                        // 000000009820: BF8C8F75
	s_barrier                                                  // 000000009824: BF8A0000
	v_mfma_f32_16x16x32_fp8_fp8 v[176:179], a[0:1], v[128:129], 0// 000000009828: D3F300B0 0A030100
	buffer_load_dwordx4 a[96:99], v40, s[12:15], 0 offen       // 000000009830: E05C1000 80836028
	v_mfma_f32_16x16x32_fp8_fp8 v[176:179], a[2:3], v[130:131], v[176:179]// 000000009838: D3F300B0 0EC30502
	v_mfma_f32_16x16x32_fp8_fp8 v[180:183], a[0:1], v[152:153], 0// 000000009840: D3F300B4 0A033100
	v_mfma_f32_16x16x32_fp8_fp8 v[180:183], a[2:3], v[154:155], v[180:183]// 000000009848: D3F300B4 0ED33502
	v_mfma_f32_16x16x32_fp8_fp8 v[184:187], a[4:5], v[128:129], 0// 000000009850: D3F300B8 0A030104
	buffer_load_dwordx4 a[100:103], v41, s[12:15], 0 offen     // 000000009858: E05C1000 80836429
	v_mfma_f32_16x16x32_fp8_fp8 v[184:187], a[6:7], v[130:131], v[184:187]// 000000009860: D3F300B8 0EE30506
	v_mfma_f32_16x16x32_fp8_fp8 v[188:191], a[4:5], v[152:153], 0// 000000009868: D3F300BC 0A033104
	v_mfma_f32_16x16x32_fp8_fp8 v[188:191], a[6:7], v[154:155], v[188:191]// 000000009870: D3F300BC 0EF33506
	v_mfma_f32_16x16x32_fp8_fp8 v[192:195], a[8:9], v[128:129], 0// 000000009878: D3F300C0 0A030108
	buffer_load_dwordx4 a[104:107], v42, s[12:15], 0 offen     // 000000009880: E05C1000 8083682A
	v_mfma_f32_16x16x32_fp8_fp8 v[192:195], a[10:11], v[130:131], v[192:195]// 000000009888: D3F300C0 0F03050A
	v_mfma_f32_16x16x32_fp8_fp8 v[196:199], a[8:9], v[152:153], 0// 000000009890: D3F300C4 0A033108
	v_mfma_f32_16x16x32_fp8_fp8 v[196:199], a[10:11], v[154:155], v[196:199]// 000000009898: D3F300C4 0F13350A
	v_mfma_f32_16x16x32_fp8_fp8 v[200:203], a[12:13], v[128:129], 0// 0000000098A0: D3F300C8 0A03010C
	buffer_load_dwordx4 a[108:111], v43, s[12:15], 0 offen     // 0000000098A8: E05C1000 80836C2B
	s_add_u32 s12, s78, s12                                    // 0000000098B0: 800C0C4E
	s_addc_u32 s13, 0, s13                                     // 0000000098B4: 820D0D80
	v_mfma_f32_16x16x32_fp8_fp8 v[200:203], a[14:15], v[130:131], v[200:203]// 0000000098B8: D3F300C8 0F23050E
	v_mfma_f32_16x16x32_fp8_fp8 v[204:207], a[12:13], v[152:153], 0// 0000000098C0: D3F300CC 0A03310C
	v_mfma_f32_16x16x32_fp8_fp8 v[204:207], a[14:15], v[154:155], v[204:207]// 0000000098C8: D3F300CC 0F33350E
	s_waitcnt vmcnt(37)                                        // 0000000098D0: BF8C8F75
	v_mfma_f32_16x16x32_fp8_fp8 v[176:179], a[16:17], v[132:133], v[176:179]// 0000000098D4: D3F300B0 0EC30910
	buffer_load_dwordx4 a[112:115], v40, s[12:15], 0 offen     // 0000000098DC: E05C1000 80837028
	v_mfma_f32_16x16x32_fp8_fp8 v[176:179], a[18:19], v[134:135], v[176:179]// 0000000098E4: D3F300B0 0EC30D12
	v_mfma_f32_16x16x32_fp8_fp8 v[180:183], a[16:17], v[156:157], v[180:183]// 0000000098EC: D3F300B4 0ED33910
	v_mfma_f32_16x16x32_fp8_fp8 v[180:183], a[18:19], v[158:159], v[180:183]// 0000000098F4: D3F300B4 0ED33D12
	v_mfma_f32_16x16x32_fp8_fp8 v[184:187], a[20:21], v[132:133], v[184:187]// 0000000098FC: D3F300B8 0EE30914
	buffer_load_dwordx4 a[116:119], v41, s[12:15], 0 offen     // 000000009904: E05C1000 80837429
	v_mfma_f32_16x16x32_fp8_fp8 v[184:187], a[22:23], v[134:135], v[184:187]// 00000000990C: D3F300B8 0EE30D16
	v_mfma_f32_16x16x32_fp8_fp8 v[188:191], a[20:21], v[156:157], v[188:191]// 000000009914: D3F300BC 0EF33914
	v_mfma_f32_16x16x32_fp8_fp8 v[188:191], a[22:23], v[158:159], v[188:191]// 00000000991C: D3F300BC 0EF33D16
	v_mfma_f32_16x16x32_fp8_fp8 v[192:195], a[24:25], v[132:133], v[192:195]// 000000009924: D3F300C0 0F030918
	buffer_load_dwordx4 a[120:123], v42, s[12:15], 0 offen     // 00000000992C: E05C1000 8083782A
	v_mfma_f32_16x16x32_fp8_fp8 v[192:195], a[26:27], v[134:135], v[192:195]// 000000009934: D3F300C0 0F030D1A
	v_mfma_f32_16x16x32_fp8_fp8 v[196:199], a[24:25], v[156:157], v[196:199]// 00000000993C: D3F300C4 0F133918
	v_mfma_f32_16x16x32_fp8_fp8 v[196:199], a[26:27], v[158:159], v[196:199]// 000000009944: D3F300C4 0F133D1A
	v_mfma_f32_16x16x32_fp8_fp8 v[200:203], a[28:29], v[132:133], v[200:203]// 00000000994C: D3F300C8 0F23091C
	buffer_load_dwordx4 a[124:127], v43, s[12:15], 0 offen     // 000000009954: E05C1000 80837C2B
	s_add_u32 s12, s78, s12                                    // 00000000995C: 800C0C4E
	s_addc_u32 s13, 0, s13                                     // 000000009960: 820D0D80
	v_mfma_f32_16x16x32_fp8_fp8 v[200:203], a[30:31], v[134:135], v[200:203]// 000000009964: D3F300C8 0F230D1E
	v_mfma_f32_16x16x32_fp8_fp8 v[204:207], a[28:29], v[156:157], v[204:207]// 00000000996C: D3F300CC 0F33391C
	v_mfma_f32_16x16x32_fp8_fp8 v[204:207], a[30:31], v[158:159], v[204:207]// 000000009974: D3F300CC 0F333D1E
	s_waitcnt vmcnt(37)                                        // 00000000997C: BF8C8F75
	v_mfma_f32_16x16x32_fp8_fp8 v[176:179], a[32:33], v[136:137], v[176:179]// 000000009980: D3F300B0 0EC31120
	buffer_load_dwordx4 a[128:131], v40, s[12:15], 0 offen     // 000000009988: E05C1000 80838028
	v_mfma_f32_16x16x32_fp8_fp8 v[176:179], a[34:35], v[138:139], v[176:179]// 000000009990: D3F300B0 0EC31522
	v_mfma_f32_16x16x32_fp8_fp8 v[180:183], a[32:33], v[160:161], v[180:183]// 000000009998: D3F300B4 0ED34120
	v_mfma_f32_16x16x32_fp8_fp8 v[180:183], a[34:35], v[162:163], v[180:183]// 0000000099A0: D3F300B4 0ED34522
	v_mfma_f32_16x16x32_fp8_fp8 v[184:187], a[36:37], v[136:137], v[184:187]// 0000000099A8: D3F300B8 0EE31124
	buffer_load_dwordx4 a[132:135], v41, s[12:15], 0 offen     // 0000000099B0: E05C1000 80838429
	v_mfma_f32_16x16x32_fp8_fp8 v[184:187], a[38:39], v[138:139], v[184:187]// 0000000099B8: D3F300B8 0EE31526
	v_mfma_f32_16x16x32_fp8_fp8 v[188:191], a[36:37], v[160:161], v[188:191]// 0000000099C0: D3F300BC 0EF34124
	v_mfma_f32_16x16x32_fp8_fp8 v[188:191], a[38:39], v[162:163], v[188:191]// 0000000099C8: D3F300BC 0EF34526
	v_mfma_f32_16x16x32_fp8_fp8 v[192:195], a[40:41], v[136:137], v[192:195]// 0000000099D0: D3F300C0 0F031128
	buffer_load_dwordx4 a[136:139], v42, s[12:15], 0 offen     // 0000000099D8: E05C1000 8083882A
	v_mfma_f32_16x16x32_fp8_fp8 v[192:195], a[42:43], v[138:139], v[192:195]// 0000000099E0: D3F300C0 0F03152A
	v_mfma_f32_16x16x32_fp8_fp8 v[196:199], a[40:41], v[160:161], v[196:199]// 0000000099E8: D3F300C4 0F134128
	v_mfma_f32_16x16x32_fp8_fp8 v[196:199], a[42:43], v[162:163], v[196:199]// 0000000099F0: D3F300C4 0F13452A
	v_mfma_f32_16x16x32_fp8_fp8 v[200:203], a[44:45], v[136:137], v[200:203]// 0000000099F8: D3F300C8 0F23112C
	buffer_load_dwordx4 a[140:143], v43, s[12:15], 0 offen     // 000000009A00: E05C1000 80838C2B
	s_add_u32 s12, s78, s12                                    // 000000009A08: 800C0C4E
	s_addc_u32 s13, 0, s13                                     // 000000009A0C: 820D0D80
	v_mfma_f32_16x16x32_fp8_fp8 v[200:203], a[46:47], v[138:139], v[200:203]// 000000009A10: D3F300C8 0F23152E
	v_mfma_f32_16x16x32_fp8_fp8 v[204:207], a[44:45], v[160:161], v[204:207]// 000000009A18: D3F300CC 0F33412C
	v_mfma_f32_16x16x32_fp8_fp8 v[204:207], a[46:47], v[162:163], v[204:207]// 000000009A20: D3F300CC 0F33452E
	s_waitcnt vmcnt(37)                                        // 000000009A28: BF8C8F75
	v_mfma_f32_16x16x32_fp8_fp8 v[176:179], a[48:49], v[140:141], v[176:179]// 000000009A2C: D3F300B0 0EC31930
	buffer_load_dwordx4 a[144:147], v40, s[12:15], 0 offen     // 000000009A34: E05C1000 80839028
	v_mfma_f32_16x16x32_fp8_fp8 v[176:179], a[50:51], v[142:143], v[176:179]// 000000009A3C: D3F300B0 0EC31D32
	v_mfma_f32_16x16x32_fp8_fp8 v[180:183], a[48:49], v[164:165], v[180:183]// 000000009A44: D3F300B4 0ED34930
	v_mfma_f32_16x16x32_fp8_fp8 v[180:183], a[50:51], v[166:167], v[180:183]// 000000009A4C: D3F300B4 0ED34D32
	v_mfma_f32_16x16x32_fp8_fp8 v[184:187], a[52:53], v[140:141], v[184:187]// 000000009A54: D3F300B8 0EE31934
	buffer_load_dwordx4 a[148:151], v41, s[12:15], 0 offen     // 000000009A5C: E05C1000 80839429
	v_mfma_f32_16x16x32_fp8_fp8 v[184:187], a[54:55], v[142:143], v[184:187]// 000000009A64: D3F300B8 0EE31D36
	v_mfma_f32_16x16x32_fp8_fp8 v[188:191], a[52:53], v[164:165], v[188:191]// 000000009A6C: D3F300BC 0EF34934
	v_mfma_f32_16x16x32_fp8_fp8 v[188:191], a[54:55], v[166:167], v[188:191]// 000000009A74: D3F300BC 0EF34D36
	v_mfma_f32_16x16x32_fp8_fp8 v[192:195], a[56:57], v[140:141], v[192:195]// 000000009A7C: D3F300C0 0F031938
	buffer_load_dwordx4 a[152:155], v42, s[12:15], 0 offen     // 000000009A84: E05C1000 8083982A
	v_mfma_f32_16x16x32_fp8_fp8 v[192:195], a[58:59], v[142:143], v[192:195]// 000000009A8C: D3F300C0 0F031D3A
	v_mfma_f32_16x16x32_fp8_fp8 v[196:199], a[56:57], v[164:165], v[196:199]// 000000009A94: D3F300C4 0F134938
	v_mfma_f32_16x16x32_fp8_fp8 v[196:199], a[58:59], v[166:167], v[196:199]// 000000009A9C: D3F300C4 0F134D3A
	v_mfma_f32_16x16x32_fp8_fp8 v[200:203], a[60:61], v[140:141], v[200:203]// 000000009AA4: D3F300C8 0F23193C
	buffer_load_dwordx4 a[156:159], v43, s[12:15], 0 offen     // 000000009AAC: E05C1000 80839C2B
	s_add_u32 s12, s78, s12                                    // 000000009AB4: 800C0C4E
	s_addc_u32 s13, 0, s13                                     // 000000009AB8: 820D0D80
	v_mfma_f32_16x16x32_fp8_fp8 v[200:203], a[62:63], v[142:143], v[200:203]// 000000009ABC: D3F300C8 0F231D3E
	v_mfma_f32_16x16x32_fp8_fp8 v[204:207], a[60:61], v[164:165], v[204:207]// 000000009AC4: D3F300CC 0F33493C
	v_mfma_f32_16x16x32_fp8_fp8 v[204:207], a[62:63], v[166:167], v[204:207]// 000000009ACC: D3F300CC 0F334D3E
	s_waitcnt vmcnt(37)                                        // 000000009AD4: BF8C8F75
	v_mfma_f32_16x16x32_fp8_fp8 v[176:179], a[64:65], v[144:145], v[176:179]// 000000009AD8: D3F300B0 0EC32140
	buffer_load_dwordx4 a[160:163], v40, s[12:15], 0 offen     // 000000009AE0: E05C1000 8083A028
	v_mfma_f32_16x16x32_fp8_fp8 v[176:179], a[66:67], v[146:147], v[176:179]// 000000009AE8: D3F300B0 0EC32542
	v_mfma_f32_16x16x32_fp8_fp8 v[180:183], a[64:65], v[168:169], v[180:183]// 000000009AF0: D3F300B4 0ED35140
	v_mfma_f32_16x16x32_fp8_fp8 v[180:183], a[66:67], v[170:171], v[180:183]// 000000009AF8: D3F300B4 0ED35542
	v_mfma_f32_16x16x32_fp8_fp8 v[184:187], a[68:69], v[144:145], v[184:187]// 000000009B00: D3F300B8 0EE32144
	buffer_load_dwordx4 a[164:167], v41, s[12:15], 0 offen     // 000000009B08: E05C1000 8083A429
	v_mfma_f32_16x16x32_fp8_fp8 v[184:187], a[70:71], v[146:147], v[184:187]// 000000009B10: D3F300B8 0EE32546
	v_mfma_f32_16x16x32_fp8_fp8 v[188:191], a[68:69], v[168:169], v[188:191]// 000000009B18: D3F300BC 0EF35144
	v_mfma_f32_16x16x32_fp8_fp8 v[188:191], a[70:71], v[170:171], v[188:191]// 000000009B20: D3F300BC 0EF35546
	v_mfma_f32_16x16x32_fp8_fp8 v[192:195], a[72:73], v[144:145], v[192:195]// 000000009B28: D3F300C0 0F032148
	buffer_load_dwordx4 a[168:171], v42, s[12:15], 0 offen     // 000000009B30: E05C1000 8083A82A
	v_mfma_f32_16x16x32_fp8_fp8 v[192:195], a[74:75], v[146:147], v[192:195]// 000000009B38: D3F300C0 0F03254A
	v_mfma_f32_16x16x32_fp8_fp8 v[196:199], a[72:73], v[168:169], v[196:199]// 000000009B40: D3F300C4 0F135148
	v_mfma_f32_16x16x32_fp8_fp8 v[196:199], a[74:75], v[170:171], v[196:199]// 000000009B48: D3F300C4 0F13554A
	v_mfma_f32_16x16x32_fp8_fp8 v[200:203], a[76:77], v[144:145], v[200:203]// 000000009B50: D3F300C8 0F23214C
	buffer_load_dwordx4 a[172:175], v43, s[12:15], 0 offen     // 000000009B58: E05C1000 8083AC2B
	s_add_u32 s12, s78, s12                                    // 000000009B60: 800C0C4E
	s_addc_u32 s13, 0, s13                                     // 000000009B64: 820D0D80
	v_mfma_f32_16x16x32_fp8_fp8 v[200:203], a[78:79], v[146:147], v[200:203]// 000000009B68: D3F300C8 0F23254E
	v_mfma_f32_16x16x32_fp8_fp8 v[204:207], a[76:77], v[168:169], v[204:207]// 000000009B70: D3F300CC 0F33514C
	v_mfma_f32_16x16x32_fp8_fp8 v[204:207], a[78:79], v[170:171], v[204:207]// 000000009B78: D3F300CC 0F33554E
	s_waitcnt vmcnt(36)                                        // 000000009B80: BF8C8F74
	v_mfma_f32_16x16x32_fp8_fp8 v[176:179], a[80:81], v[148:149], v[176:179]// 000000009B84: D3F300B0 0EC32950
	buffer_load_dwordx4 a[176:179], v40, s[12:15], 0 offen     // 000000009B8C: E05C1000 8083B028
	v_mfma_f32_16x16x32_fp8_fp8 v[176:179], a[82:83], v[150:151], v[176:179]// 000000009B94: D3F300B0 0EC32D52
	v_mfma_f32_16x16x32_fp8_fp8 v[180:183], a[80:81], v[172:173], v[180:183]// 000000009B9C: D3F300B4 0ED35950
	buffer_load_dword v13, v5, s[16:19], 0 offen               // 000000009BA4: E0501000 80040D05
	v_mfma_f32_16x16x32_fp8_fp8 v[180:183], a[82:83], v[174:175], v[180:183]// 000000009BAC: D3F300B4 0ED35D52
	v_mfma_f32_16x16x32_fp8_fp8 v[184:187], a[84:85], v[148:149], v[184:187]// 000000009BB4: D3F300B8 0EE32954
	buffer_load_dwordx4 a[180:183], v41, s[12:15], 0 offen     // 000000009BBC: E05C1000 8083B429
	v_mfma_f32_16x16x32_fp8_fp8 v[184:187], a[86:87], v[150:151], v[184:187]// 000000009BC4: D3F300B8 0EE32D56
	v_mfma_f32_16x16x32_fp8_fp8 v[188:191], a[84:85], v[172:173], v[188:191]// 000000009BCC: D3F300BC 0EF35954
	v_mfma_f32_16x16x32_fp8_fp8 v[188:191], a[86:87], v[174:175], v[188:191]// 000000009BD4: D3F300BC 0EF35D56
	v_mfma_f32_16x16x32_fp8_fp8 v[192:195], a[88:89], v[148:149], v[192:195]// 000000009BDC: D3F300C0 0F032958
	buffer_load_dwordx4 a[184:187], v42, s[12:15], 0 offen     // 000000009BE4: E05C1000 8083B82A
	v_mfma_f32_16x16x32_fp8_fp8 v[192:195], a[90:91], v[150:151], v[192:195]// 000000009BEC: D3F300C0 0F032D5A
	v_mfma_f32_16x16x32_fp8_fp8 v[196:199], a[88:89], v[172:173], v[196:199]// 000000009BF4: D3F300C4 0F135958
	v_mfma_f32_16x16x32_fp8_fp8 v[196:199], a[90:91], v[174:175], v[196:199]// 000000009BFC: D3F300C4 0F135D5A
	v_mfma_f32_16x16x32_fp8_fp8 v[200:203], a[92:93], v[148:149], v[200:203]// 000000009C04: D3F300C8 0F23295C
	buffer_load_dwordx4 a[188:191], v43, s[12:15], 0 offen     // 000000009C0C: E05C1000 8083BC2B
	v_mfma_f32_16x16x32_fp8_fp8 v[200:203], a[94:95], v[150:151], v[200:203]// 000000009C14: D3F300C8 0F232D5E
	v_mfma_f32_16x16x32_fp8_fp8 v[204:207], a[92:93], v[172:173], v[204:207]// 000000009C1C: D3F300CC 0F33595C
	v_mfma_f32_16x16x32_fp8_fp8 v[204:207], a[94:95], v[174:175], v[204:207]// 000000009C24: D3F300CC 0F335D5E
	s_add_u32 s60, 0x200, s80                                  // 000000009C2C: 803C50FF 00000200
	s_cmp_lt_u32 s60, s81                                      // 000000009C34: BF0A513C
	s_cselect_b32 s56, s56, 0                                  // 000000009C38: 85388038
	s_cselect_b32 s78, s78, 0                                  // 000000009C3C: 854E804E
	s_cselect_b32 s79, s79, 0                                  // 000000009C40: 854F804F
	s_add_u32 s12, s56, s12                                    // 000000009C44: 800C0C38
	s_addc_u32 s13, 0, s13                                     // 000000009C48: 820D0D80
	s_add_u32 s16, s79, s16                                    // 000000009C4C: 8010104F
	s_addc_u32 s17, 0, s17                                     // 000000009C50: 82111180
	v_mul_f32_e32 v176, v24, v176                              // 000000009C54: 0B616118
	v_mul_f32_e32 v177, v24, v177                              // 000000009C58: 0B636318
	v_mul_f32_e32 v178, v24, v178                              // 000000009C5C: 0B656518
	v_mul_f32_e32 v179, v24, v179                              // 000000009C60: 0B676718
	v_mul_f32_dpp v176, v12, v176 row_newbcast:0 row_mask:0xf bank_mask:0xf// 000000009C64: 0B6160FA FF01500C
	v_mul_f32_dpp v177, v12, v177 row_newbcast:1 row_mask:0xf bank_mask:0xf// 000000009C6C: 0B6362FA FF01510C
	v_mul_f32_dpp v178, v12, v178 row_newbcast:2 row_mask:0xf bank_mask:0xf// 000000009C74: 0B6564FA FF01520C
	v_mul_f32_dpp v179, v12, v179 row_newbcast:3 row_mask:0xf bank_mask:0xf// 000000009C7C: 0B6766FA FF01530C
	v_mul_f32_e32 v180, v25, v180                              // 000000009C84: 0B696919
	v_mul_f32_e32 v181, v25, v181                              // 000000009C88: 0B6B6B19
	v_mul_f32_e32 v182, v25, v182                              // 000000009C8C: 0B6D6D19
	v_mul_f32_e32 v183, v25, v183                              // 000000009C90: 0B6F6F19
	v_mul_f32_dpp v180, v12, v180 row_newbcast:0 row_mask:0xf bank_mask:0xf// 000000009C94: 0B6968FA FF01500C
	v_mul_f32_dpp v181, v12, v181 row_newbcast:1 row_mask:0xf bank_mask:0xf// 000000009C9C: 0B6B6AFA FF01510C
	v_mul_f32_dpp v182, v12, v182 row_newbcast:2 row_mask:0xf bank_mask:0xf// 000000009CA4: 0B6D6CFA FF01520C
	v_mul_f32_dpp v183, v12, v183 row_newbcast:3 row_mask:0xf bank_mask:0xf// 000000009CAC: 0B6F6EFA FF01530C
	v_mul_f32_e32 v184, v24, v184                              // 000000009CB4: 0B717118
	v_mul_f32_e32 v185, v24, v185                              // 000000009CB8: 0B737318
	v_mul_f32_e32 v186, v24, v186                              // 000000009CBC: 0B757518
	v_mul_f32_e32 v187, v24, v187                              // 000000009CC0: 0B777718
	v_mul_f32_dpp v184, v12, v184 row_newbcast:4 row_mask:0xf bank_mask:0xf// 000000009CC4: 0B7170FA FF01540C
	v_mul_f32_dpp v185, v12, v185 row_newbcast:5 row_mask:0xf bank_mask:0xf// 000000009CCC: 0B7372FA FF01550C
	v_mul_f32_dpp v186, v12, v186 row_newbcast:6 row_mask:0xf bank_mask:0xf// 000000009CD4: 0B7574FA FF01560C
	v_mul_f32_dpp v187, v12, v187 row_newbcast:7 row_mask:0xf bank_mask:0xf// 000000009CDC: 0B7776FA FF01570C
	v_mul_f32_e32 v188, v25, v188                              // 000000009CE4: 0B797919
	v_mul_f32_e32 v189, v25, v189                              // 000000009CE8: 0B7B7B19
	v_mul_f32_e32 v190, v25, v190                              // 000000009CEC: 0B7D7D19
	v_mul_f32_e32 v191, v25, v191                              // 000000009CF0: 0B7F7F19
	v_mul_f32_dpp v188, v12, v188 row_newbcast:4 row_mask:0xf bank_mask:0xf// 000000009CF4: 0B7978FA FF01540C
	v_mul_f32_dpp v189, v12, v189 row_newbcast:5 row_mask:0xf bank_mask:0xf// 000000009CFC: 0B7B7AFA FF01550C
	v_mul_f32_dpp v190, v12, v190 row_newbcast:6 row_mask:0xf bank_mask:0xf// 000000009D04: 0B7D7CFA FF01560C
	v_mul_f32_dpp v191, v12, v191 row_newbcast:7 row_mask:0xf bank_mask:0xf// 000000009D0C: 0B7F7EFA FF01570C
	v_mul_f32_e32 v192, v24, v192                              // 000000009D14: 0B818118
	v_mul_f32_e32 v193, v24, v193                              // 000000009D18: 0B838318
	v_mul_f32_e32 v194, v24, v194                              // 000000009D1C: 0B858518
	v_mul_f32_e32 v195, v24, v195                              // 000000009D20: 0B878718
	v_mul_f32_dpp v192, v12, v192 row_newbcast:8 row_mask:0xf bank_mask:0xf// 000000009D24: 0B8180FA FF01580C
	v_mul_f32_dpp v193, v12, v193 row_newbcast:9 row_mask:0xf bank_mask:0xf// 000000009D2C: 0B8382FA FF01590C
	v_mul_f32_dpp v194, v12, v194 row_newbcast:10 row_mask:0xf bank_mask:0xf// 000000009D34: 0B8584FA FF015A0C
	v_mul_f32_dpp v195, v12, v195 row_newbcast:11 row_mask:0xf bank_mask:0xf// 000000009D3C: 0B8786FA FF015B0C
	v_mul_f32_e32 v196, v25, v196                              // 000000009D44: 0B898919
	v_mul_f32_e32 v197, v25, v197                              // 000000009D48: 0B8B8B19
	v_mul_f32_e32 v198, v25, v198                              // 000000009D4C: 0B8D8D19
	v_mul_f32_e32 v199, v25, v199                              // 000000009D50: 0B8F8F19
	v_mul_f32_dpp v196, v12, v196 row_newbcast:8 row_mask:0xf bank_mask:0xf// 000000009D54: 0B8988FA FF01580C
	v_mul_f32_dpp v197, v12, v197 row_newbcast:9 row_mask:0xf bank_mask:0xf// 000000009D5C: 0B8B8AFA FF01590C
	v_mul_f32_dpp v198, v12, v198 row_newbcast:10 row_mask:0xf bank_mask:0xf// 000000009D64: 0B8D8CFA FF015A0C
	v_mul_f32_dpp v199, v12, v199 row_newbcast:11 row_mask:0xf bank_mask:0xf// 000000009D6C: 0B8F8EFA FF015B0C
	v_mul_f32_e32 v200, v24, v200                              // 000000009D74: 0B919118
	v_mul_f32_e32 v201, v24, v201                              // 000000009D78: 0B939318
	v_mul_f32_e32 v202, v24, v202                              // 000000009D7C: 0B959518
	v_mul_f32_e32 v203, v24, v203                              // 000000009D80: 0B979718
	v_mul_f32_dpp v200, v12, v200 row_newbcast:12 row_mask:0xf bank_mask:0xf// 000000009D84: 0B9190FA FF015C0C
	v_mul_f32_dpp v201, v12, v201 row_newbcast:13 row_mask:0xf bank_mask:0xf// 000000009D8C: 0B9392FA FF015D0C
	v_mul_f32_dpp v202, v12, v202 row_newbcast:14 row_mask:0xf bank_mask:0xf// 000000009D94: 0B9594FA FF015E0C
	v_mul_f32_dpp v203, v12, v203 row_newbcast:15 row_mask:0xf bank_mask:0xf// 000000009D9C: 0B9796FA FF015F0C
	v_mul_f32_e32 v204, v25, v204                              // 000000009DA4: 0B999919
	v_mul_f32_e32 v205, v25, v205                              // 000000009DA8: 0B9B9B19
	v_mul_f32_e32 v206, v25, v206                              // 000000009DAC: 0B9D9D19
	v_mul_f32_e32 v207, v25, v207                              // 000000009DB0: 0B9F9F19
	v_mul_f32_dpp v204, v12, v204 row_newbcast:12 row_mask:0xf bank_mask:0xf// 000000009DB4: 0B9998FA FF015C0C
	v_mul_f32_dpp v205, v12, v205 row_newbcast:13 row_mask:0xf bank_mask:0xf// 000000009DBC: 0B9B9AFA FF015D0C
	v_mul_f32_dpp v206, v12, v206 row_newbcast:14 row_mask:0xf bank_mask:0xf// 000000009DC4: 0B9D9CFA FF015E0C
	v_mul_f32_dpp v207, v12, v207 row_newbcast:15 row_mask:0xf bank_mask:0xf// 000000009DCC: 0B9F9EFA FF015F0C
	v_cmp_u_f32_e64 s[48:49], v176, v176                       // 000000009DD4: D0480030 000361B0
	v_add3_u32 v44, v176, v47, 1                               // 000000009DDC: D1FF002C 02065FB0
	v_cndmask_b32_e64 v50, v44, v46, s[48:49]                  // 000000009DE4: D1000032 00C25D2C
	v_cmp_u_f32_e64 s[48:49], v177, v177                       // 000000009DEC: D0480030 000363B1
	v_add3_u32 v44, v177, v47, 1                               // 000000009DF4: D1FF002C 02065FB1
	v_cndmask_b32_e64 v51, v44, v46, s[48:49]                  // 000000009DFC: D1000033 00C25D2C
	v_perm_b32 v176, v51, v50, s52                             // 000000009E04: D1ED00B0 00D26533
	v_cmp_u_f32_e64 s[48:49], v178, v178                       // 000000009E0C: D0480030 000365B2
	v_add3_u32 v44, v178, v47, 1                               // 000000009E14: D1FF002C 02065FB2
	v_cndmask_b32_e64 v50, v44, v46, s[48:49]                  // 000000009E1C: D1000032 00C25D2C
	v_cmp_u_f32_e64 s[48:49], v179, v179                       // 000000009E24: D0480030 000367B3
	v_add3_u32 v44, v179, v47, 1                               // 000000009E2C: D1FF002C 02065FB3
	v_cndmask_b32_e64 v51, v44, v46, s[48:49]                  // 000000009E34: D1000033 00C25D2C
	v_perm_b32 v177, v51, v50, s52                             // 000000009E3C: D1ED00B1 00D26533
	v_cmp_u_f32_e64 s[48:49], v180, v180                       // 000000009E44: D0480030 000369B4
	v_add3_u32 v44, v180, v47, 1                               // 000000009E4C: D1FF002C 02065FB4
	v_cndmask_b32_e64 v50, v44, v46, s[48:49]                  // 000000009E54: D1000032 00C25D2C
	v_cmp_u_f32_e64 s[48:49], v181, v181                       // 000000009E5C: D0480030 00036BB5
	v_add3_u32 v44, v181, v47, 1                               // 000000009E64: D1FF002C 02065FB5
	v_cndmask_b32_e64 v51, v44, v46, s[48:49]                  // 000000009E6C: D1000033 00C25D2C
	v_perm_b32 v178, v51, v50, s52                             // 000000009E74: D1ED00B2 00D26533
	v_cmp_u_f32_e64 s[48:49], v182, v182                       // 000000009E7C: D0480030 00036DB6
	v_add3_u32 v44, v182, v47, 1                               // 000000009E84: D1FF002C 02065FB6
	v_cndmask_b32_e64 v50, v44, v46, s[48:49]                  // 000000009E8C: D1000032 00C25D2C
	v_cmp_u_f32_e64 s[48:49], v183, v183                       // 000000009E94: D0480030 00036FB7
	v_add3_u32 v44, v183, v47, 1                               // 000000009E9C: D1FF002C 02065FB7
	v_cndmask_b32_e64 v51, v44, v46, s[48:49]                  // 000000009EA4: D1000033 00C25D2C
	v_perm_b32 v179, v51, v50, s52                             // 000000009EAC: D1ED00B3 00D26533
	v_cmp_u_f32_e64 s[48:49], v184, v184                       // 000000009EB4: D0480030 000371B8
	v_add3_u32 v44, v184, v47, 1                               // 000000009EBC: D1FF002C 02065FB8
	v_cndmask_b32_e64 v50, v44, v46, s[48:49]                  // 000000009EC4: D1000032 00C25D2C
	v_cmp_u_f32_e64 s[48:49], v185, v185                       // 000000009ECC: D0480030 000373B9
	v_add3_u32 v44, v185, v47, 1                               // 000000009ED4: D1FF002C 02065FB9
	v_cndmask_b32_e64 v51, v44, v46, s[48:49]                  // 000000009EDC: D1000033 00C25D2C
	v_perm_b32 v180, v51, v50, s52                             // 000000009EE4: D1ED00B4 00D26533
	v_cmp_u_f32_e64 s[48:49], v186, v186                       // 000000009EEC: D0480030 000375BA
	v_add3_u32 v44, v186, v47, 1                               // 000000009EF4: D1FF002C 02065FBA
	v_cndmask_b32_e64 v50, v44, v46, s[48:49]                  // 000000009EFC: D1000032 00C25D2C
	v_cmp_u_f32_e64 s[48:49], v187, v187                       // 000000009F04: D0480030 000377BB
	v_add3_u32 v44, v187, v47, 1                               // 000000009F0C: D1FF002C 02065FBB
	v_cndmask_b32_e64 v51, v44, v46, s[48:49]                  // 000000009F14: D1000033 00C25D2C
	v_perm_b32 v181, v51, v50, s52                             // 000000009F1C: D1ED00B5 00D26533
	v_cmp_u_f32_e64 s[48:49], v188, v188                       // 000000009F24: D0480030 000379BC
	v_add3_u32 v44, v188, v47, 1                               // 000000009F2C: D1FF002C 02065FBC
	v_cndmask_b32_e64 v50, v44, v46, s[48:49]                  // 000000009F34: D1000032 00C25D2C
	v_cmp_u_f32_e64 s[48:49], v189, v189                       // 000000009F3C: D0480030 00037BBD
	v_add3_u32 v44, v189, v47, 1                               // 000000009F44: D1FF002C 02065FBD
	v_cndmask_b32_e64 v51, v44, v46, s[48:49]                  // 000000009F4C: D1000033 00C25D2C
	v_perm_b32 v182, v51, v50, s52                             // 000000009F54: D1ED00B6 00D26533
	v_cmp_u_f32_e64 s[48:49], v190, v190                       // 000000009F5C: D0480030 00037DBE
	v_add3_u32 v44, v190, v47, 1                               // 000000009F64: D1FF002C 02065FBE
	v_cndmask_b32_e64 v50, v44, v46, s[48:49]                  // 000000009F6C: D1000032 00C25D2C
	v_cmp_u_f32_e64 s[48:49], v191, v191                       // 000000009F74: D0480030 00037FBF
	v_add3_u32 v44, v191, v47, 1                               // 000000009F7C: D1FF002C 02065FBF
	v_cndmask_b32_e64 v51, v44, v46, s[48:49]                  // 000000009F84: D1000033 00C25D2C
	v_perm_b32 v183, v51, v50, s52                             // 000000009F8C: D1ED00B7 00D26533
	v_cmp_u_f32_e64 s[48:49], v192, v192                       // 000000009F94: D0480030 000381C0
	v_add3_u32 v44, v192, v47, 1                               // 000000009F9C: D1FF002C 02065FC0
	v_cndmask_b32_e64 v50, v44, v46, s[48:49]                  // 000000009FA4: D1000032 00C25D2C
	v_cmp_u_f32_e64 s[48:49], v193, v193                       // 000000009FAC: D0480030 000383C1
	v_add3_u32 v44, v193, v47, 1                               // 000000009FB4: D1FF002C 02065FC1
	v_cndmask_b32_e64 v51, v44, v46, s[48:49]                  // 000000009FBC: D1000033 00C25D2C
	v_perm_b32 v184, v51, v50, s52                             // 000000009FC4: D1ED00B8 00D26533
	v_cmp_u_f32_e64 s[48:49], v194, v194                       // 000000009FCC: D0480030 000385C2
	v_add3_u32 v44, v194, v47, 1                               // 000000009FD4: D1FF002C 02065FC2
	v_cndmask_b32_e64 v50, v44, v46, s[48:49]                  // 000000009FDC: D1000032 00C25D2C
	v_cmp_u_f32_e64 s[48:49], v195, v195                       // 000000009FE4: D0480030 000387C3
	v_add3_u32 v44, v195, v47, 1                               // 000000009FEC: D1FF002C 02065FC3
	v_cndmask_b32_e64 v51, v44, v46, s[48:49]                  // 000000009FF4: D1000033 00C25D2C
	v_perm_b32 v185, v51, v50, s52                             // 000000009FFC: D1ED00B9 00D26533
	v_cmp_u_f32_e64 s[48:49], v196, v196                       // 00000000A004: D0480030 000389C4
	v_add3_u32 v44, v196, v47, 1                               // 00000000A00C: D1FF002C 02065FC4
	v_cndmask_b32_e64 v50, v44, v46, s[48:49]                  // 00000000A014: D1000032 00C25D2C
	v_cmp_u_f32_e64 s[48:49], v197, v197                       // 00000000A01C: D0480030 00038BC5
	v_add3_u32 v44, v197, v47, 1                               // 00000000A024: D1FF002C 02065FC5
	v_cndmask_b32_e64 v51, v44, v46, s[48:49]                  // 00000000A02C: D1000033 00C25D2C
	v_perm_b32 v186, v51, v50, s52                             // 00000000A034: D1ED00BA 00D26533
	v_cmp_u_f32_e64 s[48:49], v198, v198                       // 00000000A03C: D0480030 00038DC6
	v_add3_u32 v44, v198, v47, 1                               // 00000000A044: D1FF002C 02065FC6
	v_cndmask_b32_e64 v50, v44, v46, s[48:49]                  // 00000000A04C: D1000032 00C25D2C
	v_cmp_u_f32_e64 s[48:49], v199, v199                       // 00000000A054: D0480030 00038FC7
	v_add3_u32 v44, v199, v47, 1                               // 00000000A05C: D1FF002C 02065FC7
	v_cndmask_b32_e64 v51, v44, v46, s[48:49]                  // 00000000A064: D1000033 00C25D2C
	v_perm_b32 v187, v51, v50, s52                             // 00000000A06C: D1ED00BB 00D26533
	v_cmp_u_f32_e64 s[48:49], v200, v200                       // 00000000A074: D0480030 000391C8
	v_add3_u32 v44, v200, v47, 1                               // 00000000A07C: D1FF002C 02065FC8
	v_cndmask_b32_e64 v50, v44, v46, s[48:49]                  // 00000000A084: D1000032 00C25D2C
	v_cmp_u_f32_e64 s[48:49], v201, v201                       // 00000000A08C: D0480030 000393C9
	v_add3_u32 v44, v201, v47, 1                               // 00000000A094: D1FF002C 02065FC9
	v_cndmask_b32_e64 v51, v44, v46, s[48:49]                  // 00000000A09C: D1000033 00C25D2C
	v_perm_b32 v188, v51, v50, s52                             // 00000000A0A4: D1ED00BC 00D26533
	v_cmp_u_f32_e64 s[48:49], v202, v202                       // 00000000A0AC: D0480030 000395CA
	v_add3_u32 v44, v202, v47, 1                               // 00000000A0B4: D1FF002C 02065FCA
	v_cndmask_b32_e64 v50, v44, v46, s[48:49]                  // 00000000A0BC: D1000032 00C25D2C
	v_cmp_u_f32_e64 s[48:49], v203, v203                       // 00000000A0C4: D0480030 000397CB
	v_add3_u32 v44, v203, v47, 1                               // 00000000A0CC: D1FF002C 02065FCB
	v_cndmask_b32_e64 v51, v44, v46, s[48:49]                  // 00000000A0D4: D1000033 00C25D2C
	v_perm_b32 v189, v51, v50, s52                             // 00000000A0DC: D1ED00BD 00D26533
	v_cmp_u_f32_e64 s[48:49], v204, v204                       // 00000000A0E4: D0480030 000399CC
	v_add3_u32 v44, v204, v47, 1                               // 00000000A0EC: D1FF002C 02065FCC
	v_cndmask_b32_e64 v50, v44, v46, s[48:49]                  // 00000000A0F4: D1000032 00C25D2C
	v_cmp_u_f32_e64 s[48:49], v205, v205                       // 00000000A0FC: D0480030 00039BCD
	v_add3_u32 v44, v205, v47, 1                               // 00000000A104: D1FF002C 02065FCD
	v_cndmask_b32_e64 v51, v44, v46, s[48:49]                  // 00000000A10C: D1000033 00C25D2C
	v_perm_b32 v190, v51, v50, s52                             // 00000000A114: D1ED00BE 00D26533
	v_cmp_u_f32_e64 s[48:49], v206, v206                       // 00000000A11C: D0480030 00039DCE
	v_add3_u32 v44, v206, v47, 1                               // 00000000A124: D1FF002C 02065FCE
	v_cndmask_b32_e64 v50, v44, v46, s[48:49]                  // 00000000A12C: D1000032 00C25D2C
	v_cmp_u_f32_e64 s[48:49], v207, v207                       // 00000000A134: D0480030 00039FCF
	v_add3_u32 v44, v207, v47, 1                               // 00000000A13C: D1FF002C 02065FCF
	v_cndmask_b32_e64 v51, v44, v46, s[48:49]                  // 00000000A144: D1000033 00C25D2C
	v_perm_b32 v191, v51, v50, s52                             // 00000000A14C: D1ED00BF 00D26533
	ds_write_b64 v3, v[176:177] offset:30976                   // 00000000A154: D89A7900 0000B003
	ds_write_b64 v3, v[178:179] offset:39680                   // 00000000A15C: D89A9B00 0000B203
	ds_write_b64 v3, v[180:181] offset:33152                   // 00000000A164: D89A8180 0000B403
	ds_write_b64 v3, v[182:183] offset:41856                   // 00000000A16C: D89AA380 0000B603
	ds_write_b64 v3, v[184:185] offset:35328                   // 00000000A174: D89A8A00 0000B803
	ds_write_b64 v3, v[186:187] offset:44032                   // 00000000A17C: D89AAC00 0000BA03
	ds_write_b64 v3, v[188:189] offset:37504                   // 00000000A184: D89A9280 0000BC03
	ds_write_b64 v3, v[190:191] offset:46208                   // 00000000A18C: D89AB480 0000BE03
	s_waitcnt lgkmcnt(0)                                       // 00000000A194: BF8CC07F
	s_barrier                                                  // 00000000A198: BF8A0000
	ds_read_b32 v64, v4 offset:30976                           // 00000000A19C: D86C7900 40000004
	ds_read_b32 v65, v4 offset:35328                           // 00000000A1A4: D86C8A00 41000004
	ds_read_b32 v66, v4 offset:31008                           // 00000000A1AC: D86C7920 42000004
	ds_read_b32 v67, v4 offset:35360                           // 00000000A1B4: D86C8A20 43000004
	ds_read_b32 v68, v4 offset:31040                           // 00000000A1BC: D86C7940 44000004
	ds_read_b32 v69, v4 offset:35392                           // 00000000A1C4: D86C8A40 45000004
	ds_read_b32 v70, v4 offset:31072                           // 00000000A1CC: D86C7960 46000004
	ds_read_b32 v71, v4 offset:35424                           // 00000000A1D4: D86C8A60 47000004
	ds_read_b32 v72, v4 offset:39680                           // 00000000A1DC: D86C9B00 48000004
	ds_read_b32 v73, v4 offset:44032                           // 00000000A1E4: D86CAC00 49000004
	ds_read_b32 v74, v4 offset:39712                           // 00000000A1EC: D86C9B20 4A000004
	ds_read_b32 v75, v4 offset:44064                           // 00000000A1F4: D86CAC20 4B000004
	ds_read_b32 v76, v4 offset:39744                           // 00000000A1FC: D86C9B40 4C000004
	ds_read_b32 v77, v4 offset:44096                           // 00000000A204: D86CAC40 4D000004
	ds_read_b32 v78, v4 offset:39776                           // 00000000A20C: D86C9B60 4E000004
	ds_read_b32 v79, v4 offset:44128                           // 00000000A214: D86CAC60 4F000004
	s_waitcnt lgkmcnt(0)                                       // 00000000A21C: BF8CC07F
	s_mov_b64 exec, s[20:21]                                   // 00000000A220: BEFE0114
	global_atomic_pk_add_bf16 v80, v64, s[8:9]                 // 00000000A224: DD488000 00084050
	s_mov_b64 exec, s[36:37]                                   // 00000000A22C: BEFE0124
	s_mov_b64 exec, s[20:21]                                   // 00000000A230: BEFE0114
	global_atomic_pk_add_bf16 v80, v65, s[8:9] offset:256      // 00000000A234: DD488100 00084150
	s_mov_b64 exec, s[36:37]                                   // 00000000A23C: BEFE0124
	s_mov_b64 exec, s[22:23]                                   // 00000000A240: BEFE0116
	global_atomic_pk_add_bf16 v82, v66, s[8:9]                 // 00000000A244: DD488000 00084252
	s_mov_b64 exec, s[36:37]                                   // 00000000A24C: BEFE0124
	s_mov_b64 exec, s[22:23]                                   // 00000000A250: BEFE0116
	global_atomic_pk_add_bf16 v82, v67, s[8:9] offset:256      // 00000000A254: DD488100 00084352
	s_mov_b64 exec, s[36:37]                                   // 00000000A25C: BEFE0124
	s_mov_b64 exec, s[24:25]                                   // 00000000A260: BEFE0118
	global_atomic_pk_add_bf16 v84, v68, s[8:9]                 // 00000000A264: DD488000 00084454
	s_mov_b64 exec, s[36:37]                                   // 00000000A26C: BEFE0124
	s_mov_b64 exec, s[24:25]                                   // 00000000A270: BEFE0118
	global_atomic_pk_add_bf16 v84, v69, s[8:9] offset:256      // 00000000A274: DD488100 00084554
	s_mov_b64 exec, s[36:37]                                   // 00000000A27C: BEFE0124
	s_mov_b64 exec, s[26:27]                                   // 00000000A280: BEFE011A
	global_atomic_pk_add_bf16 v86, v70, s[8:9]                 // 00000000A284: DD488000 00084656
	s_mov_b64 exec, s[36:37]                                   // 00000000A28C: BEFE0124
	s_mov_b64 exec, s[26:27]                                   // 00000000A290: BEFE011A
	global_atomic_pk_add_bf16 v86, v71, s[8:9] offset:256      // 00000000A294: DD488100 00084756
	s_mov_b64 exec, s[36:37]                                   // 00000000A29C: BEFE0124
	s_mov_b64 exec, s[28:29]                                   // 00000000A2A0: BEFE011C
	global_atomic_pk_add_bf16 v88, v72, s[8:9]                 // 00000000A2A4: DD488000 00084858
	s_mov_b64 exec, s[36:37]                                   // 00000000A2AC: BEFE0124
	s_mov_b64 exec, s[28:29]                                   // 00000000A2B0: BEFE011C
	global_atomic_pk_add_bf16 v88, v73, s[8:9] offset:256      // 00000000A2B4: DD488100 00084958
	s_mov_b64 exec, s[36:37]                                   // 00000000A2BC: BEFE0124
	s_mov_b64 exec, s[30:31]                                   // 00000000A2C0: BEFE011E
	global_atomic_pk_add_bf16 v90, v74, s[8:9]                 // 00000000A2C4: DD488000 00084A5A
	s_mov_b64 exec, s[36:37]                                   // 00000000A2CC: BEFE0124
	s_mov_b64 exec, s[30:31]                                   // 00000000A2D0: BEFE011E
	global_atomic_pk_add_bf16 v90, v75, s[8:9] offset:256      // 00000000A2D4: DD488100 00084B5A
	s_mov_b64 exec, s[36:37]                                   // 00000000A2DC: BEFE0124
	s_mov_b64 exec, s[32:33]                                   // 00000000A2E0: BEFE0120
	global_atomic_pk_add_bf16 v92, v76, s[8:9]                 // 00000000A2E4: DD488000 00084C5C
	s_mov_b64 exec, s[36:37]                                   // 00000000A2EC: BEFE0124
	s_mov_b64 exec, s[32:33]                                   // 00000000A2F0: BEFE0120
	global_atomic_pk_add_bf16 v92, v77, s[8:9] offset:256      // 00000000A2F4: DD488100 00084D5C
	s_mov_b64 exec, s[36:37]                                   // 00000000A2FC: BEFE0124
	s_mov_b64 exec, s[34:35]                                   // 00000000A300: BEFE0122
	global_atomic_pk_add_bf16 v94, v78, s[8:9]                 // 00000000A304: DD488000 00084E5E
	s_mov_b64 exec, s[36:37]                                   // 00000000A30C: BEFE0124
	s_mov_b64 exec, s[34:35]                                   // 00000000A310: BEFE0122
	global_atomic_pk_add_bf16 v94, v79, s[8:9] offset:256      // 00000000A314: DD488100 00084F5E
	s_mov_b64 exec, s[36:37]                                   // 00000000A31C: BEFE0124
	s_add_u32 s8, s59, s8                                      // 00000000A320: 8008083B
	s_addc_u32 s9, 0, s9                                       // 00000000A324: 82090980
	s_addk_i32 s80, 0x100                                      // 00000000A328: B7500100
	s_cmp_lt_i32 s80, s81                                      // 00000000A32C: BF045150
	s_cbranch_scc0 label_116C                                  // 00000000A330: BF84F41F
	s_waitcnt vmcnt(37)                                        // 00000000A334: BF8C8F75
	s_barrier                                                  // 00000000A338: BF8A0000
	v_mfma_f32_16x16x32_fp8_fp8 v[208:211], a[96:97], v[128:129], 0// 00000000A33C: D3F300D0 0A030160
	buffer_load_dwordx4 a[0:3], v40, s[12:15], 0 offen         // 00000000A344: E05C1000 80830028
	v_mfma_f32_16x16x32_fp8_fp8 v[208:211], a[98:99], v[130:131], v[208:211]// 00000000A34C: D3F300D0 0F430562
	v_mfma_f32_16x16x32_fp8_fp8 v[212:215], a[96:97], v[152:153], 0// 00000000A354: D3F300D4 0A033160
	v_mfma_f32_16x16x32_fp8_fp8 v[212:215], a[98:99], v[154:155], v[212:215]// 00000000A35C: D3F300D4 0F533562
	v_mfma_f32_16x16x32_fp8_fp8 v[216:219], a[100:101], v[128:129], 0// 00000000A364: D3F300D8 0A030164
	buffer_load_dwordx4 a[4:7], v41, s[12:15], 0 offen         // 00000000A36C: E05C1000 80830429
	v_mfma_f32_16x16x32_fp8_fp8 v[216:219], a[102:103], v[130:131], v[216:219]// 00000000A374: D3F300D8 0F630566
	v_mfma_f32_16x16x32_fp8_fp8 v[220:223], a[100:101], v[152:153], 0// 00000000A37C: D3F300DC 0A033164
	v_mfma_f32_16x16x32_fp8_fp8 v[220:223], a[102:103], v[154:155], v[220:223]// 00000000A384: D3F300DC 0F733566
	v_mfma_f32_16x16x32_fp8_fp8 v[224:227], a[104:105], v[128:129], 0// 00000000A38C: D3F300E0 0A030168
	buffer_load_dwordx4 a[8:11], v42, s[12:15], 0 offen        // 00000000A394: E05C1000 8083082A
	v_mfma_f32_16x16x32_fp8_fp8 v[224:227], a[106:107], v[130:131], v[224:227]// 00000000A39C: D3F300E0 0F83056A
	v_mfma_f32_16x16x32_fp8_fp8 v[228:231], a[104:105], v[152:153], 0// 00000000A3A4: D3F300E4 0A033168
	v_mfma_f32_16x16x32_fp8_fp8 v[228:231], a[106:107], v[154:155], v[228:231]// 00000000A3AC: D3F300E4 0F93356A
	v_mfma_f32_16x16x32_fp8_fp8 v[232:235], a[108:109], v[128:129], 0// 00000000A3B4: D3F300E8 0A03016C
	buffer_load_dwordx4 a[12:15], v43, s[12:15], 0 offen       // 00000000A3BC: E05C1000 80830C2B
	s_add_u32 s12, s78, s12                                    // 00000000A3C4: 800C0C4E
	s_addc_u32 s13, 0, s13                                     // 00000000A3C8: 820D0D80
	v_mfma_f32_16x16x32_fp8_fp8 v[232:235], a[110:111], v[130:131], v[232:235]// 00000000A3CC: D3F300E8 0FA3056E
	v_mfma_f32_16x16x32_fp8_fp8 v[236:239], a[108:109], v[152:153], 0// 00000000A3D4: D3F300EC 0A03316C
	v_mfma_f32_16x16x32_fp8_fp8 v[236:239], a[110:111], v[154:155], v[236:239]// 00000000A3DC: D3F300EC 0FB3356E
	s_waitcnt vmcnt(37)                                        // 00000000A3E4: BF8C8F75
	v_mfma_f32_16x16x32_fp8_fp8 v[208:211], a[112:113], v[132:133], v[208:211]// 00000000A3E8: D3F300D0 0F430970
	buffer_load_dwordx4 a[16:19], v40, s[12:15], 0 offen       // 00000000A3F0: E05C1000 80831028
	v_mfma_f32_16x16x32_fp8_fp8 v[208:211], a[114:115], v[134:135], v[208:211]// 00000000A3F8: D3F300D0 0F430D72
	v_mfma_f32_16x16x32_fp8_fp8 v[212:215], a[112:113], v[156:157], v[212:215]// 00000000A400: D3F300D4 0F533970
	v_mfma_f32_16x16x32_fp8_fp8 v[212:215], a[114:115], v[158:159], v[212:215]// 00000000A408: D3F300D4 0F533D72
	v_mfma_f32_16x16x32_fp8_fp8 v[216:219], a[116:117], v[132:133], v[216:219]// 00000000A410: D3F300D8 0F630974
	buffer_load_dwordx4 a[20:23], v41, s[12:15], 0 offen       // 00000000A418: E05C1000 80831429
	v_mfma_f32_16x16x32_fp8_fp8 v[216:219], a[118:119], v[134:135], v[216:219]// 00000000A420: D3F300D8 0F630D76
	v_mfma_f32_16x16x32_fp8_fp8 v[220:223], a[116:117], v[156:157], v[220:223]// 00000000A428: D3F300DC 0F733974
	v_mfma_f32_16x16x32_fp8_fp8 v[220:223], a[118:119], v[158:159], v[220:223]// 00000000A430: D3F300DC 0F733D76
	v_mfma_f32_16x16x32_fp8_fp8 v[224:227], a[120:121], v[132:133], v[224:227]// 00000000A438: D3F300E0 0F830978
	buffer_load_dwordx4 a[24:27], v42, s[12:15], 0 offen       // 00000000A440: E05C1000 8083182A
	v_mfma_f32_16x16x32_fp8_fp8 v[224:227], a[122:123], v[134:135], v[224:227]// 00000000A448: D3F300E0 0F830D7A
	v_mfma_f32_16x16x32_fp8_fp8 v[228:231], a[120:121], v[156:157], v[228:231]// 00000000A450: D3F300E4 0F933978
	v_mfma_f32_16x16x32_fp8_fp8 v[228:231], a[122:123], v[158:159], v[228:231]// 00000000A458: D3F300E4 0F933D7A
	v_mfma_f32_16x16x32_fp8_fp8 v[232:235], a[124:125], v[132:133], v[232:235]// 00000000A460: D3F300E8 0FA3097C
	buffer_load_dwordx4 a[28:31], v43, s[12:15], 0 offen       // 00000000A468: E05C1000 80831C2B
	s_add_u32 s12, s78, s12                                    // 00000000A470: 800C0C4E
	s_addc_u32 s13, 0, s13                                     // 00000000A474: 820D0D80
	v_mfma_f32_16x16x32_fp8_fp8 v[232:235], a[126:127], v[134:135], v[232:235]// 00000000A478: D3F300E8 0FA30D7E
	v_mfma_f32_16x16x32_fp8_fp8 v[236:239], a[124:125], v[156:157], v[236:239]// 00000000A480: D3F300EC 0FB3397C
	v_mfma_f32_16x16x32_fp8_fp8 v[236:239], a[126:127], v[158:159], v[236:239]// 00000000A488: D3F300EC 0FB33D7E
	s_waitcnt vmcnt(37)                                        // 00000000A490: BF8C8F75
	v_mfma_f32_16x16x32_fp8_fp8 v[208:211], a[128:129], v[136:137], v[208:211]// 00000000A494: D3F300D0 0F431180
	buffer_load_dwordx4 a[32:35], v40, s[12:15], 0 offen       // 00000000A49C: E05C1000 80832028
	v_mfma_f32_16x16x32_fp8_fp8 v[208:211], a[130:131], v[138:139], v[208:211]// 00000000A4A4: D3F300D0 0F431582
	v_mfma_f32_16x16x32_fp8_fp8 v[212:215], a[128:129], v[160:161], v[212:215]// 00000000A4AC: D3F300D4 0F534180
	v_mfma_f32_16x16x32_fp8_fp8 v[212:215], a[130:131], v[162:163], v[212:215]// 00000000A4B4: D3F300D4 0F534582
	v_mfma_f32_16x16x32_fp8_fp8 v[216:219], a[132:133], v[136:137], v[216:219]// 00000000A4BC: D3F300D8 0F631184
	buffer_load_dwordx4 a[36:39], v41, s[12:15], 0 offen       // 00000000A4C4: E05C1000 80832429
	v_mfma_f32_16x16x32_fp8_fp8 v[216:219], a[134:135], v[138:139], v[216:219]// 00000000A4CC: D3F300D8 0F631586
	v_mfma_f32_16x16x32_fp8_fp8 v[220:223], a[132:133], v[160:161], v[220:223]// 00000000A4D4: D3F300DC 0F734184
	v_mfma_f32_16x16x32_fp8_fp8 v[220:223], a[134:135], v[162:163], v[220:223]// 00000000A4DC: D3F300DC 0F734586
	v_mfma_f32_16x16x32_fp8_fp8 v[224:227], a[136:137], v[136:137], v[224:227]// 00000000A4E4: D3F300E0 0F831188
	buffer_load_dwordx4 a[40:43], v42, s[12:15], 0 offen       // 00000000A4EC: E05C1000 8083282A
	v_mfma_f32_16x16x32_fp8_fp8 v[224:227], a[138:139], v[138:139], v[224:227]// 00000000A4F4: D3F300E0 0F83158A
	v_mfma_f32_16x16x32_fp8_fp8 v[228:231], a[136:137], v[160:161], v[228:231]// 00000000A4FC: D3F300E4 0F934188
	v_mfma_f32_16x16x32_fp8_fp8 v[228:231], a[138:139], v[162:163], v[228:231]// 00000000A504: D3F300E4 0F93458A
	v_mfma_f32_16x16x32_fp8_fp8 v[232:235], a[140:141], v[136:137], v[232:235]// 00000000A50C: D3F300E8 0FA3118C
	buffer_load_dwordx4 a[44:47], v43, s[12:15], 0 offen       // 00000000A514: E05C1000 80832C2B
	s_add_u32 s12, s78, s12                                    // 00000000A51C: 800C0C4E
	s_addc_u32 s13, 0, s13                                     // 00000000A520: 820D0D80
	v_mfma_f32_16x16x32_fp8_fp8 v[232:235], a[142:143], v[138:139], v[232:235]// 00000000A524: D3F300E8 0FA3158E
	v_mfma_f32_16x16x32_fp8_fp8 v[236:239], a[140:141], v[160:161], v[236:239]// 00000000A52C: D3F300EC 0FB3418C
	v_mfma_f32_16x16x32_fp8_fp8 v[236:239], a[142:143], v[162:163], v[236:239]// 00000000A534: D3F300EC 0FB3458E
	s_waitcnt vmcnt(37)                                        // 00000000A53C: BF8C8F75
	v_mfma_f32_16x16x32_fp8_fp8 v[208:211], a[144:145], v[140:141], v[208:211]// 00000000A540: D3F300D0 0F431990
	buffer_load_dwordx4 a[48:51], v40, s[12:15], 0 offen       // 00000000A548: E05C1000 80833028
	v_mfma_f32_16x16x32_fp8_fp8 v[208:211], a[146:147], v[142:143], v[208:211]// 00000000A550: D3F300D0 0F431D92
	v_mfma_f32_16x16x32_fp8_fp8 v[212:215], a[144:145], v[164:165], v[212:215]// 00000000A558: D3F300D4 0F534990
	v_mfma_f32_16x16x32_fp8_fp8 v[212:215], a[146:147], v[166:167], v[212:215]// 00000000A560: D3F300D4 0F534D92
	v_mfma_f32_16x16x32_fp8_fp8 v[216:219], a[148:149], v[140:141], v[216:219]// 00000000A568: D3F300D8 0F631994
	buffer_load_dwordx4 a[52:55], v41, s[12:15], 0 offen       // 00000000A570: E05C1000 80833429
	v_mfma_f32_16x16x32_fp8_fp8 v[216:219], a[150:151], v[142:143], v[216:219]// 00000000A578: D3F300D8 0F631D96
	v_mfma_f32_16x16x32_fp8_fp8 v[220:223], a[148:149], v[164:165], v[220:223]// 00000000A580: D3F300DC 0F734994
	v_mfma_f32_16x16x32_fp8_fp8 v[220:223], a[150:151], v[166:167], v[220:223]// 00000000A588: D3F300DC 0F734D96
	v_mfma_f32_16x16x32_fp8_fp8 v[224:227], a[152:153], v[140:141], v[224:227]// 00000000A590: D3F300E0 0F831998
	buffer_load_dwordx4 a[56:59], v42, s[12:15], 0 offen       // 00000000A598: E05C1000 8083382A
	v_mfma_f32_16x16x32_fp8_fp8 v[224:227], a[154:155], v[142:143], v[224:227]// 00000000A5A0: D3F300E0 0F831D9A
	v_mfma_f32_16x16x32_fp8_fp8 v[228:231], a[152:153], v[164:165], v[228:231]// 00000000A5A8: D3F300E4 0F934998
	v_mfma_f32_16x16x32_fp8_fp8 v[228:231], a[154:155], v[166:167], v[228:231]// 00000000A5B0: D3F300E4 0F934D9A
	v_mfma_f32_16x16x32_fp8_fp8 v[232:235], a[156:157], v[140:141], v[232:235]// 00000000A5B8: D3F300E8 0FA3199C
	buffer_load_dwordx4 a[60:63], v43, s[12:15], 0 offen       // 00000000A5C0: E05C1000 80833C2B
	s_add_u32 s12, s78, s12                                    // 00000000A5C8: 800C0C4E
	s_addc_u32 s13, 0, s13                                     // 00000000A5CC: 820D0D80
	v_mfma_f32_16x16x32_fp8_fp8 v[232:235], a[158:159], v[142:143], v[232:235]// 00000000A5D0: D3F300E8 0FA31D9E
	v_mfma_f32_16x16x32_fp8_fp8 v[236:239], a[156:157], v[164:165], v[236:239]// 00000000A5D8: D3F300EC 0FB3499C
	v_mfma_f32_16x16x32_fp8_fp8 v[236:239], a[158:159], v[166:167], v[236:239]// 00000000A5E0: D3F300EC 0FB34D9E
	s_waitcnt vmcnt(37)                                        // 00000000A5E8: BF8C8F75
	v_mfma_f32_16x16x32_fp8_fp8 v[208:211], a[160:161], v[144:145], v[208:211]// 00000000A5EC: D3F300D0 0F4321A0
	buffer_load_dwordx4 a[64:67], v40, s[12:15], 0 offen       // 00000000A5F4: E05C1000 80834028
	v_mfma_f32_16x16x32_fp8_fp8 v[208:211], a[162:163], v[146:147], v[208:211]// 00000000A5FC: D3F300D0 0F4325A2
	v_mfma_f32_16x16x32_fp8_fp8 v[212:215], a[160:161], v[168:169], v[212:215]// 00000000A604: D3F300D4 0F5351A0
	v_mfma_f32_16x16x32_fp8_fp8 v[212:215], a[162:163], v[170:171], v[212:215]// 00000000A60C: D3F300D4 0F5355A2
	v_mfma_f32_16x16x32_fp8_fp8 v[216:219], a[164:165], v[144:145], v[216:219]// 00000000A614: D3F300D8 0F6321A4
	buffer_load_dwordx4 a[68:71], v41, s[12:15], 0 offen       // 00000000A61C: E05C1000 80834429
	v_mfma_f32_16x16x32_fp8_fp8 v[216:219], a[166:167], v[146:147], v[216:219]// 00000000A624: D3F300D8 0F6325A6
	v_mfma_f32_16x16x32_fp8_fp8 v[220:223], a[164:165], v[168:169], v[220:223]// 00000000A62C: D3F300DC 0F7351A4
	v_mfma_f32_16x16x32_fp8_fp8 v[220:223], a[166:167], v[170:171], v[220:223]// 00000000A634: D3F300DC 0F7355A6
	v_mfma_f32_16x16x32_fp8_fp8 v[224:227], a[168:169], v[144:145], v[224:227]// 00000000A63C: D3F300E0 0F8321A8
	buffer_load_dwordx4 a[72:75], v42, s[12:15], 0 offen       // 00000000A644: E05C1000 8083482A
	v_mfma_f32_16x16x32_fp8_fp8 v[224:227], a[170:171], v[146:147], v[224:227]// 00000000A64C: D3F300E0 0F8325AA
	v_mfma_f32_16x16x32_fp8_fp8 v[228:231], a[168:169], v[168:169], v[228:231]// 00000000A654: D3F300E4 0F9351A8
	v_mfma_f32_16x16x32_fp8_fp8 v[228:231], a[170:171], v[170:171], v[228:231]// 00000000A65C: D3F300E4 0F9355AA
	v_mfma_f32_16x16x32_fp8_fp8 v[232:235], a[172:173], v[144:145], v[232:235]// 00000000A664: D3F300E8 0FA321AC
	buffer_load_dwordx4 a[76:79], v43, s[12:15], 0 offen       // 00000000A66C: E05C1000 80834C2B
	s_add_u32 s12, s78, s12                                    // 00000000A674: 800C0C4E
	s_addc_u32 s13, 0, s13                                     // 00000000A678: 820D0D80
	v_mfma_f32_16x16x32_fp8_fp8 v[232:235], a[174:175], v[146:147], v[232:235]// 00000000A67C: D3F300E8 0FA325AE
	v_mfma_f32_16x16x32_fp8_fp8 v[236:239], a[172:173], v[168:169], v[236:239]// 00000000A684: D3F300EC 0FB351AC
	v_mfma_f32_16x16x32_fp8_fp8 v[236:239], a[174:175], v[170:171], v[236:239]// 00000000A68C: D3F300EC 0FB355AE
	s_waitcnt vmcnt(36)                                        // 00000000A694: BF8C8F74
	v_mfma_f32_16x16x32_fp8_fp8 v[208:211], a[176:177], v[148:149], v[208:211]// 00000000A698: D3F300D0 0F4329B0
	buffer_load_dwordx4 a[80:83], v40, s[12:15], 0 offen       // 00000000A6A0: E05C1000 80835028
	v_mfma_f32_16x16x32_fp8_fp8 v[208:211], a[178:179], v[150:151], v[208:211]// 00000000A6A8: D3F300D0 0F432DB2
	v_mfma_f32_16x16x32_fp8_fp8 v[212:215], a[176:177], v[172:173], v[212:215]// 00000000A6B0: D3F300D4 0F5359B0
	buffer_load_dword v12, v5, s[16:19], 0 offen               // 00000000A6B8: E0501000 80040C05
	v_mfma_f32_16x16x32_fp8_fp8 v[212:215], a[178:179], v[174:175], v[212:215]// 00000000A6C0: D3F300D4 0F535DB2
	v_mfma_f32_16x16x32_fp8_fp8 v[216:219], a[180:181], v[148:149], v[216:219]// 00000000A6C8: D3F300D8 0F6329B4
	buffer_load_dwordx4 a[84:87], v41, s[12:15], 0 offen       // 00000000A6D0: E05C1000 80835429
	v_mfma_f32_16x16x32_fp8_fp8 v[216:219], a[182:183], v[150:151], v[216:219]// 00000000A6D8: D3F300D8 0F632DB6
	v_mfma_f32_16x16x32_fp8_fp8 v[220:223], a[180:181], v[172:173], v[220:223]// 00000000A6E0: D3F300DC 0F7359B4
	v_mfma_f32_16x16x32_fp8_fp8 v[220:223], a[182:183], v[174:175], v[220:223]// 00000000A6E8: D3F300DC 0F735DB6
	v_mfma_f32_16x16x32_fp8_fp8 v[224:227], a[184:185], v[148:149], v[224:227]// 00000000A6F0: D3F300E0 0F8329B8
	buffer_load_dwordx4 a[88:91], v42, s[12:15], 0 offen       // 00000000A6F8: E05C1000 8083582A
	v_mfma_f32_16x16x32_fp8_fp8 v[224:227], a[186:187], v[150:151], v[224:227]// 00000000A700: D3F300E0 0F832DBA
	v_mfma_f32_16x16x32_fp8_fp8 v[228:231], a[184:185], v[172:173], v[228:231]// 00000000A708: D3F300E4 0F9359B8
	v_mfma_f32_16x16x32_fp8_fp8 v[228:231], a[186:187], v[174:175], v[228:231]// 00000000A710: D3F300E4 0F935DBA
	v_mfma_f32_16x16x32_fp8_fp8 v[232:235], a[188:189], v[148:149], v[232:235]// 00000000A718: D3F300E8 0FA329BC
	buffer_load_dwordx4 a[92:95], v43, s[12:15], 0 offen       // 00000000A720: E05C1000 80835C2B
	v_mfma_f32_16x16x32_fp8_fp8 v[232:235], a[190:191], v[150:151], v[232:235]// 00000000A728: D3F300E8 0FA32DBE
	v_mfma_f32_16x16x32_fp8_fp8 v[236:239], a[188:189], v[172:173], v[236:239]// 00000000A730: D3F300EC 0FB359BC
	v_mfma_f32_16x16x32_fp8_fp8 v[236:239], a[190:191], v[174:175], v[236:239]// 00000000A738: D3F300EC 0FB35DBE
	s_add_u32 s60, 0x200, s80                                  // 00000000A740: 803C50FF 00000200
	s_cmp_lt_u32 s60, s81                                      // 00000000A748: BF0A513C
	s_cselect_b32 s56, s56, 0                                  // 00000000A74C: 85388038
	s_cselect_b32 s78, s78, 0                                  // 00000000A750: 854E804E
	s_cselect_b32 s79, s79, 0                                  // 00000000A754: 854F804F
	s_add_u32 s12, s56, s12                                    // 00000000A758: 800C0C38
	s_addc_u32 s13, 0, s13                                     // 00000000A75C: 820D0D80
	s_add_u32 s16, s79, s16                                    // 00000000A760: 8010104F
	s_addc_u32 s17, 0, s17                                     // 00000000A764: 82111180
	v_mul_f32_e32 v208, v24, v208                              // 00000000A768: 0BA1A118
	v_mul_f32_e32 v209, v24, v209                              // 00000000A76C: 0BA3A318
	v_mul_f32_e32 v210, v24, v210                              // 00000000A770: 0BA5A518
	v_mul_f32_e32 v211, v24, v211                              // 00000000A774: 0BA7A718
	v_mul_f32_dpp v208, v13, v208 row_newbcast:0 row_mask:0xf bank_mask:0xf// 00000000A778: 0BA1A0FA FF01500D
	v_mul_f32_dpp v209, v13, v209 row_newbcast:1 row_mask:0xf bank_mask:0xf// 00000000A780: 0BA3A2FA FF01510D
	v_mul_f32_dpp v210, v13, v210 row_newbcast:2 row_mask:0xf bank_mask:0xf// 00000000A788: 0BA5A4FA FF01520D
	v_mul_f32_dpp v211, v13, v211 row_newbcast:3 row_mask:0xf bank_mask:0xf// 00000000A790: 0BA7A6FA FF01530D
	v_mul_f32_e32 v212, v25, v212                              // 00000000A798: 0BA9A919
	v_mul_f32_e32 v213, v25, v213                              // 00000000A79C: 0BABAB19
	v_mul_f32_e32 v214, v25, v214                              // 00000000A7A0: 0BADAD19
	v_mul_f32_e32 v215, v25, v215                              // 00000000A7A4: 0BAFAF19
	v_mul_f32_dpp v212, v13, v212 row_newbcast:0 row_mask:0xf bank_mask:0xf// 00000000A7A8: 0BA9A8FA FF01500D
	v_mul_f32_dpp v213, v13, v213 row_newbcast:1 row_mask:0xf bank_mask:0xf// 00000000A7B0: 0BABAAFA FF01510D
	v_mul_f32_dpp v214, v13, v214 row_newbcast:2 row_mask:0xf bank_mask:0xf// 00000000A7B8: 0BADACFA FF01520D
	v_mul_f32_dpp v215, v13, v215 row_newbcast:3 row_mask:0xf bank_mask:0xf// 00000000A7C0: 0BAFAEFA FF01530D
	v_mul_f32_e32 v216, v24, v216                              // 00000000A7C8: 0BB1B118
	v_mul_f32_e32 v217, v24, v217                              // 00000000A7CC: 0BB3B318
	v_mul_f32_e32 v218, v24, v218                              // 00000000A7D0: 0BB5B518
	v_mul_f32_e32 v219, v24, v219                              // 00000000A7D4: 0BB7B718
	v_mul_f32_dpp v216, v13, v216 row_newbcast:4 row_mask:0xf bank_mask:0xf// 00000000A7D8: 0BB1B0FA FF01540D
	v_mul_f32_dpp v217, v13, v217 row_newbcast:5 row_mask:0xf bank_mask:0xf// 00000000A7E0: 0BB3B2FA FF01550D
	v_mul_f32_dpp v218, v13, v218 row_newbcast:6 row_mask:0xf bank_mask:0xf// 00000000A7E8: 0BB5B4FA FF01560D
	v_mul_f32_dpp v219, v13, v219 row_newbcast:7 row_mask:0xf bank_mask:0xf// 00000000A7F0: 0BB7B6FA FF01570D
	v_mul_f32_e32 v220, v25, v220                              // 00000000A7F8: 0BB9B919
	v_mul_f32_e32 v221, v25, v221                              // 00000000A7FC: 0BBBBB19
	v_mul_f32_e32 v222, v25, v222                              // 00000000A800: 0BBDBD19
	v_mul_f32_e32 v223, v25, v223                              // 00000000A804: 0BBFBF19
	v_mul_f32_dpp v220, v13, v220 row_newbcast:4 row_mask:0xf bank_mask:0xf// 00000000A808: 0BB9B8FA FF01540D
	v_mul_f32_dpp v221, v13, v221 row_newbcast:5 row_mask:0xf bank_mask:0xf// 00000000A810: 0BBBBAFA FF01550D
	v_mul_f32_dpp v222, v13, v222 row_newbcast:6 row_mask:0xf bank_mask:0xf// 00000000A818: 0BBDBCFA FF01560D
	v_mul_f32_dpp v223, v13, v223 row_newbcast:7 row_mask:0xf bank_mask:0xf// 00000000A820: 0BBFBEFA FF01570D
	v_mul_f32_e32 v224, v24, v224                              // 00000000A828: 0BC1C118
	v_mul_f32_e32 v225, v24, v225                              // 00000000A82C: 0BC3C318
	v_mul_f32_e32 v226, v24, v226                              // 00000000A830: 0BC5C518
	v_mul_f32_e32 v227, v24, v227                              // 00000000A834: 0BC7C718
	v_mul_f32_dpp v224, v13, v224 row_newbcast:8 row_mask:0xf bank_mask:0xf// 00000000A838: 0BC1C0FA FF01580D
	v_mul_f32_dpp v225, v13, v225 row_newbcast:9 row_mask:0xf bank_mask:0xf// 00000000A840: 0BC3C2FA FF01590D
	v_mul_f32_dpp v226, v13, v226 row_newbcast:10 row_mask:0xf bank_mask:0xf// 00000000A848: 0BC5C4FA FF015A0D
	v_mul_f32_dpp v227, v13, v227 row_newbcast:11 row_mask:0xf bank_mask:0xf// 00000000A850: 0BC7C6FA FF015B0D
	v_mul_f32_e32 v228, v25, v228                              // 00000000A858: 0BC9C919
	v_mul_f32_e32 v229, v25, v229                              // 00000000A85C: 0BCBCB19
	v_mul_f32_e32 v230, v25, v230                              // 00000000A860: 0BCDCD19
	v_mul_f32_e32 v231, v25, v231                              // 00000000A864: 0BCFCF19
	v_mul_f32_dpp v228, v13, v228 row_newbcast:8 row_mask:0xf bank_mask:0xf// 00000000A868: 0BC9C8FA FF01580D
	v_mul_f32_dpp v229, v13, v229 row_newbcast:9 row_mask:0xf bank_mask:0xf// 00000000A870: 0BCBCAFA FF01590D
	v_mul_f32_dpp v230, v13, v230 row_newbcast:10 row_mask:0xf bank_mask:0xf// 00000000A878: 0BCDCCFA FF015A0D
	v_mul_f32_dpp v231, v13, v231 row_newbcast:11 row_mask:0xf bank_mask:0xf// 00000000A880: 0BCFCEFA FF015B0D
	v_mul_f32_e32 v232, v24, v232                              // 00000000A888: 0BD1D118
	v_mul_f32_e32 v233, v24, v233                              // 00000000A88C: 0BD3D318
	v_mul_f32_e32 v234, v24, v234                              // 00000000A890: 0BD5D518
	v_mul_f32_e32 v235, v24, v235                              // 00000000A894: 0BD7D718
	v_mul_f32_dpp v232, v13, v232 row_newbcast:12 row_mask:0xf bank_mask:0xf// 00000000A898: 0BD1D0FA FF015C0D
	v_mul_f32_dpp v233, v13, v233 row_newbcast:13 row_mask:0xf bank_mask:0xf// 00000000A8A0: 0BD3D2FA FF015D0D
	v_mul_f32_dpp v234, v13, v234 row_newbcast:14 row_mask:0xf bank_mask:0xf// 00000000A8A8: 0BD5D4FA FF015E0D
	v_mul_f32_dpp v235, v13, v235 row_newbcast:15 row_mask:0xf bank_mask:0xf// 00000000A8B0: 0BD7D6FA FF015F0D
	v_mul_f32_e32 v236, v25, v236                              // 00000000A8B8: 0BD9D919
	v_mul_f32_e32 v237, v25, v237                              // 00000000A8BC: 0BDBDB19
	v_mul_f32_e32 v238, v25, v238                              // 00000000A8C0: 0BDDDD19
	v_mul_f32_e32 v239, v25, v239                              // 00000000A8C4: 0BDFDF19
	v_mul_f32_dpp v236, v13, v236 row_newbcast:12 row_mask:0xf bank_mask:0xf// 00000000A8C8: 0BD9D8FA FF015C0D
	v_mul_f32_dpp v237, v13, v237 row_newbcast:13 row_mask:0xf bank_mask:0xf// 00000000A8D0: 0BDBDAFA FF015D0D
	v_mul_f32_dpp v238, v13, v238 row_newbcast:14 row_mask:0xf bank_mask:0xf// 00000000A8D8: 0BDDDCFA FF015E0D
	v_mul_f32_dpp v239, v13, v239 row_newbcast:15 row_mask:0xf bank_mask:0xf// 00000000A8E0: 0BDFDEFA FF015F0D
	v_cmp_u_f32_e64 s[48:49], v208, v208                       // 00000000A8E8: D0480030 0003A1D0
	v_add3_u32 v44, v208, v47, 1                               // 00000000A8F0: D1FF002C 02065FD0
	v_cndmask_b32_e64 v50, v44, v46, s[48:49]                  // 00000000A8F8: D1000032 00C25D2C
	v_cmp_u_f32_e64 s[48:49], v209, v209                       // 00000000A900: D0480030 0003A3D1
	v_add3_u32 v44, v209, v47, 1                               // 00000000A908: D1FF002C 02065FD1
	v_cndmask_b32_e64 v51, v44, v46, s[48:49]                  // 00000000A910: D1000033 00C25D2C
	v_perm_b32 v208, v51, v50, s52                             // 00000000A918: D1ED00D0 00D26533
	v_cmp_u_f32_e64 s[48:49], v210, v210                       // 00000000A920: D0480030 0003A5D2
	v_add3_u32 v44, v210, v47, 1                               // 00000000A928: D1FF002C 02065FD2
	v_cndmask_b32_e64 v50, v44, v46, s[48:49]                  // 00000000A930: D1000032 00C25D2C
	v_cmp_u_f32_e64 s[48:49], v211, v211                       // 00000000A938: D0480030 0003A7D3
	v_add3_u32 v44, v211, v47, 1                               // 00000000A940: D1FF002C 02065FD3
	v_cndmask_b32_e64 v51, v44, v46, s[48:49]                  // 00000000A948: D1000033 00C25D2C
	v_perm_b32 v209, v51, v50, s52                             // 00000000A950: D1ED00D1 00D26533
	v_cmp_u_f32_e64 s[48:49], v212, v212                       // 00000000A958: D0480030 0003A9D4
	v_add3_u32 v44, v212, v47, 1                               // 00000000A960: D1FF002C 02065FD4
	v_cndmask_b32_e64 v50, v44, v46, s[48:49]                  // 00000000A968: D1000032 00C25D2C
	v_cmp_u_f32_e64 s[48:49], v213, v213                       // 00000000A970: D0480030 0003ABD5
	v_add3_u32 v44, v213, v47, 1                               // 00000000A978: D1FF002C 02065FD5
	v_cndmask_b32_e64 v51, v44, v46, s[48:49]                  // 00000000A980: D1000033 00C25D2C
	v_perm_b32 v210, v51, v50, s52                             // 00000000A988: D1ED00D2 00D26533
	v_cmp_u_f32_e64 s[48:49], v214, v214                       // 00000000A990: D0480030 0003ADD6
	v_add3_u32 v44, v214, v47, 1                               // 00000000A998: D1FF002C 02065FD6
	v_cndmask_b32_e64 v50, v44, v46, s[48:49]                  // 00000000A9A0: D1000032 00C25D2C
	v_cmp_u_f32_e64 s[48:49], v215, v215                       // 00000000A9A8: D0480030 0003AFD7
	v_add3_u32 v44, v215, v47, 1                               // 00000000A9B0: D1FF002C 02065FD7
	v_cndmask_b32_e64 v51, v44, v46, s[48:49]                  // 00000000A9B8: D1000033 00C25D2C
	v_perm_b32 v211, v51, v50, s52                             // 00000000A9C0: D1ED00D3 00D26533
	v_cmp_u_f32_e64 s[48:49], v216, v216                       // 00000000A9C8: D0480030 0003B1D8
	v_add3_u32 v44, v216, v47, 1                               // 00000000A9D0: D1FF002C 02065FD8
	v_cndmask_b32_e64 v50, v44, v46, s[48:49]                  // 00000000A9D8: D1000032 00C25D2C
	v_cmp_u_f32_e64 s[48:49], v217, v217                       // 00000000A9E0: D0480030 0003B3D9
	v_add3_u32 v44, v217, v47, 1                               // 00000000A9E8: D1FF002C 02065FD9
	v_cndmask_b32_e64 v51, v44, v46, s[48:49]                  // 00000000A9F0: D1000033 00C25D2C
	v_perm_b32 v212, v51, v50, s52                             // 00000000A9F8: D1ED00D4 00D26533
	v_cmp_u_f32_e64 s[48:49], v218, v218                       // 00000000AA00: D0480030 0003B5DA
	v_add3_u32 v44, v218, v47, 1                               // 00000000AA08: D1FF002C 02065FDA
	v_cndmask_b32_e64 v50, v44, v46, s[48:49]                  // 00000000AA10: D1000032 00C25D2C
	v_cmp_u_f32_e64 s[48:49], v219, v219                       // 00000000AA18: D0480030 0003B7DB
	v_add3_u32 v44, v219, v47, 1                               // 00000000AA20: D1FF002C 02065FDB
	v_cndmask_b32_e64 v51, v44, v46, s[48:49]                  // 00000000AA28: D1000033 00C25D2C
	v_perm_b32 v213, v51, v50, s52                             // 00000000AA30: D1ED00D5 00D26533
	v_cmp_u_f32_e64 s[48:49], v220, v220                       // 00000000AA38: D0480030 0003B9DC
	v_add3_u32 v44, v220, v47, 1                               // 00000000AA40: D1FF002C 02065FDC
	v_cndmask_b32_e64 v50, v44, v46, s[48:49]                  // 00000000AA48: D1000032 00C25D2C
	v_cmp_u_f32_e64 s[48:49], v221, v221                       // 00000000AA50: D0480030 0003BBDD
	v_add3_u32 v44, v221, v47, 1                               // 00000000AA58: D1FF002C 02065FDD
	v_cndmask_b32_e64 v51, v44, v46, s[48:49]                  // 00000000AA60: D1000033 00C25D2C
	v_perm_b32 v214, v51, v50, s52                             // 00000000AA68: D1ED00D6 00D26533
	v_cmp_u_f32_e64 s[48:49], v222, v222                       // 00000000AA70: D0480030 0003BDDE
	v_add3_u32 v44, v222, v47, 1                               // 00000000AA78: D1FF002C 02065FDE
	v_cndmask_b32_e64 v50, v44, v46, s[48:49]                  // 00000000AA80: D1000032 00C25D2C
	v_cmp_u_f32_e64 s[48:49], v223, v223                       // 00000000AA88: D0480030 0003BFDF
	v_add3_u32 v44, v223, v47, 1                               // 00000000AA90: D1FF002C 02065FDF
	v_cndmask_b32_e64 v51, v44, v46, s[48:49]                  // 00000000AA98: D1000033 00C25D2C
	v_perm_b32 v215, v51, v50, s52                             // 00000000AAA0: D1ED00D7 00D26533
	v_cmp_u_f32_e64 s[48:49], v224, v224                       // 00000000AAA8: D0480030 0003C1E0
	v_add3_u32 v44, v224, v47, 1                               // 00000000AAB0: D1FF002C 02065FE0
	v_cndmask_b32_e64 v50, v44, v46, s[48:49]                  // 00000000AAB8: D1000032 00C25D2C
	v_cmp_u_f32_e64 s[48:49], v225, v225                       // 00000000AAC0: D0480030 0003C3E1
	v_add3_u32 v44, v225, v47, 1                               // 00000000AAC8: D1FF002C 02065FE1
	v_cndmask_b32_e64 v51, v44, v46, s[48:49]                  // 00000000AAD0: D1000033 00C25D2C
	v_perm_b32 v216, v51, v50, s52                             // 00000000AAD8: D1ED00D8 00D26533
	v_cmp_u_f32_e64 s[48:49], v226, v226                       // 00000000AAE0: D0480030 0003C5E2
	v_add3_u32 v44, v226, v47, 1                               // 00000000AAE8: D1FF002C 02065FE2
	v_cndmask_b32_e64 v50, v44, v46, s[48:49]                  // 00000000AAF0: D1000032 00C25D2C
	v_cmp_u_f32_e64 s[48:49], v227, v227                       // 00000000AAF8: D0480030 0003C7E3
	v_add3_u32 v44, v227, v47, 1                               // 00000000AB00: D1FF002C 02065FE3
	v_cndmask_b32_e64 v51, v44, v46, s[48:49]                  // 00000000AB08: D1000033 00C25D2C
	v_perm_b32 v217, v51, v50, s52                             // 00000000AB10: D1ED00D9 00D26533
	v_cmp_u_f32_e64 s[48:49], v228, v228                       // 00000000AB18: D0480030 0003C9E4
	v_add3_u32 v44, v228, v47, 1                               // 00000000AB20: D1FF002C 02065FE4
	v_cndmask_b32_e64 v50, v44, v46, s[48:49]                  // 00000000AB28: D1000032 00C25D2C
	v_cmp_u_f32_e64 s[48:49], v229, v229                       // 00000000AB30: D0480030 0003CBE5
	v_add3_u32 v44, v229, v47, 1                               // 00000000AB38: D1FF002C 02065FE5
	v_cndmask_b32_e64 v51, v44, v46, s[48:49]                  // 00000000AB40: D1000033 00C25D2C
	v_perm_b32 v218, v51, v50, s52                             // 00000000AB48: D1ED00DA 00D26533
	v_cmp_u_f32_e64 s[48:49], v230, v230                       // 00000000AB50: D0480030 0003CDE6
	v_add3_u32 v44, v230, v47, 1                               // 00000000AB58: D1FF002C 02065FE6
	v_cndmask_b32_e64 v50, v44, v46, s[48:49]                  // 00000000AB60: D1000032 00C25D2C
	v_cmp_u_f32_e64 s[48:49], v231, v231                       // 00000000AB68: D0480030 0003CFE7
	v_add3_u32 v44, v231, v47, 1                               // 00000000AB70: D1FF002C 02065FE7
	v_cndmask_b32_e64 v51, v44, v46, s[48:49]                  // 00000000AB78: D1000033 00C25D2C
	v_perm_b32 v219, v51, v50, s52                             // 00000000AB80: D1ED00DB 00D26533
	v_cmp_u_f32_e64 s[48:49], v232, v232                       // 00000000AB88: D0480030 0003D1E8
	v_add3_u32 v44, v232, v47, 1                               // 00000000AB90: D1FF002C 02065FE8
	v_cndmask_b32_e64 v50, v44, v46, s[48:49]                  // 00000000AB98: D1000032 00C25D2C
	v_cmp_u_f32_e64 s[48:49], v233, v233                       // 00000000ABA0: D0480030 0003D3E9
	v_add3_u32 v44, v233, v47, 1                               // 00000000ABA8: D1FF002C 02065FE9
	v_cndmask_b32_e64 v51, v44, v46, s[48:49]                  // 00000000ABB0: D1000033 00C25D2C
	v_perm_b32 v220, v51, v50, s52                             // 00000000ABB8: D1ED00DC 00D26533
	v_cmp_u_f32_e64 s[48:49], v234, v234                       // 00000000ABC0: D0480030 0003D5EA
	v_add3_u32 v44, v234, v47, 1                               // 00000000ABC8: D1FF002C 02065FEA
	v_cndmask_b32_e64 v50, v44, v46, s[48:49]                  // 00000000ABD0: D1000032 00C25D2C
	v_cmp_u_f32_e64 s[48:49], v235, v235                       // 00000000ABD8: D0480030 0003D7EB
	v_add3_u32 v44, v235, v47, 1                               // 00000000ABE0: D1FF002C 02065FEB
	v_cndmask_b32_e64 v51, v44, v46, s[48:49]                  // 00000000ABE8: D1000033 00C25D2C
	v_perm_b32 v221, v51, v50, s52                             // 00000000ABF0: D1ED00DD 00D26533
	v_cmp_u_f32_e64 s[48:49], v236, v236                       // 00000000ABF8: D0480030 0003D9EC
	v_add3_u32 v44, v236, v47, 1                               // 00000000AC00: D1FF002C 02065FEC
	v_cndmask_b32_e64 v50, v44, v46, s[48:49]                  // 00000000AC08: D1000032 00C25D2C
	v_cmp_u_f32_e64 s[48:49], v237, v237                       // 00000000AC10: D0480030 0003DBED
	v_add3_u32 v44, v237, v47, 1                               // 00000000AC18: D1FF002C 02065FED
	v_cndmask_b32_e64 v51, v44, v46, s[48:49]                  // 00000000AC20: D1000033 00C25D2C
	v_perm_b32 v222, v51, v50, s52                             // 00000000AC28: D1ED00DE 00D26533
	v_cmp_u_f32_e64 s[48:49], v238, v238                       // 00000000AC30: D0480030 0003DDEE
	v_add3_u32 v44, v238, v47, 1                               // 00000000AC38: D1FF002C 02065FEE
	v_cndmask_b32_e64 v50, v44, v46, s[48:49]                  // 00000000AC40: D1000032 00C25D2C
	v_cmp_u_f32_e64 s[48:49], v239, v239                       // 00000000AC48: D0480030 0003DFEF
	v_add3_u32 v44, v239, v47, 1                               // 00000000AC50: D1FF002C 02065FEF
	v_cndmask_b32_e64 v51, v44, v46, s[48:49]                  // 00000000AC58: D1000033 00C25D2C
	v_perm_b32 v223, v51, v50, s52                             // 00000000AC60: D1ED00DF 00D26533
	ds_write_b64 v3, v[208:209] offset:30976                   // 00000000AC68: D89A7900 0000D003
	ds_write_b64 v3, v[210:211] offset:39680                   // 00000000AC70: D89A9B00 0000D203
	ds_write_b64 v3, v[212:213] offset:33152                   // 00000000AC78: D89A8180 0000D403
	ds_write_b64 v3, v[214:215] offset:41856                   // 00000000AC80: D89AA380 0000D603
	ds_write_b64 v3, v[216:217] offset:35328                   // 00000000AC88: D89A8A00 0000D803
	ds_write_b64 v3, v[218:219] offset:44032                   // 00000000AC90: D89AAC00 0000DA03
	ds_write_b64 v3, v[220:221] offset:37504                   // 00000000AC98: D89A9280 0000DC03
	ds_write_b64 v3, v[222:223] offset:46208                   // 00000000ACA0: D89AB480 0000DE03
	s_waitcnt lgkmcnt(0)                                       // 00000000ACA8: BF8CC07F
	s_barrier                                                  // 00000000ACAC: BF8A0000
	ds_read_b32 v64, v4 offset:30976                           // 00000000ACB0: D86C7900 40000004
	ds_read_b32 v65, v4 offset:35328                           // 00000000ACB8: D86C8A00 41000004
	ds_read_b32 v66, v4 offset:31008                           // 00000000ACC0: D86C7920 42000004
	ds_read_b32 v67, v4 offset:35360                           // 00000000ACC8: D86C8A20 43000004
	ds_read_b32 v68, v4 offset:31040                           // 00000000ACD0: D86C7940 44000004
	ds_read_b32 v69, v4 offset:35392                           // 00000000ACD8: D86C8A40 45000004
	ds_read_b32 v70, v4 offset:31072                           // 00000000ACE0: D86C7960 46000004
	ds_read_b32 v71, v4 offset:35424                           // 00000000ACE8: D86C8A60 47000004
	ds_read_b32 v72, v4 offset:39680                           // 00000000ACF0: D86C9B00 48000004
	ds_read_b32 v73, v4 offset:44032                           // 00000000ACF8: D86CAC00 49000004
	ds_read_b32 v74, v4 offset:39712                           // 00000000AD00: D86C9B20 4A000004
	ds_read_b32 v75, v4 offset:44064                           // 00000000AD08: D86CAC20 4B000004
	ds_read_b32 v76, v4 offset:39744                           // 00000000AD10: D86C9B40 4C000004
	ds_read_b32 v77, v4 offset:44096                           // 00000000AD18: D86CAC40 4D000004
	ds_read_b32 v78, v4 offset:39776                           // 00000000AD20: D86C9B60 4E000004
	ds_read_b32 v79, v4 offset:44128                           // 00000000AD28: D86CAC60 4F000004
	s_waitcnt lgkmcnt(0)                                       // 00000000AD30: BF8CC07F
	s_mov_b64 exec, s[20:21]                                   // 00000000AD34: BEFE0114
	global_atomic_pk_add_bf16 v80, v64, s[8:9]                 // 00000000AD38: DD488000 00084050
	s_mov_b64 exec, s[36:37]                                   // 00000000AD40: BEFE0124
	s_mov_b64 exec, s[20:21]                                   // 00000000AD44: BEFE0114
	global_atomic_pk_add_bf16 v80, v65, s[8:9] offset:256      // 00000000AD48: DD488100 00084150
	s_mov_b64 exec, s[36:37]                                   // 00000000AD50: BEFE0124
	s_mov_b64 exec, s[22:23]                                   // 00000000AD54: BEFE0116
	global_atomic_pk_add_bf16 v82, v66, s[8:9]                 // 00000000AD58: DD488000 00084252
	s_mov_b64 exec, s[36:37]                                   // 00000000AD60: BEFE0124
	s_mov_b64 exec, s[22:23]                                   // 00000000AD64: BEFE0116
	global_atomic_pk_add_bf16 v82, v67, s[8:9] offset:256      // 00000000AD68: DD488100 00084352
	s_mov_b64 exec, s[36:37]                                   // 00000000AD70: BEFE0124
	s_mov_b64 exec, s[24:25]                                   // 00000000AD74: BEFE0118
	global_atomic_pk_add_bf16 v84, v68, s[8:9]                 // 00000000AD78: DD488000 00084454
	s_mov_b64 exec, s[36:37]                                   // 00000000AD80: BEFE0124
	s_mov_b64 exec, s[24:25]                                   // 00000000AD84: BEFE0118
	global_atomic_pk_add_bf16 v84, v69, s[8:9] offset:256      // 00000000AD88: DD488100 00084554
	s_mov_b64 exec, s[36:37]                                   // 00000000AD90: BEFE0124
	s_mov_b64 exec, s[26:27]                                   // 00000000AD94: BEFE011A
	global_atomic_pk_add_bf16 v86, v70, s[8:9]                 // 00000000AD98: DD488000 00084656
	s_mov_b64 exec, s[36:37]                                   // 00000000ADA0: BEFE0124
	s_mov_b64 exec, s[26:27]                                   // 00000000ADA4: BEFE011A
	global_atomic_pk_add_bf16 v86, v71, s[8:9] offset:256      // 00000000ADA8: DD488100 00084756
	s_mov_b64 exec, s[36:37]                                   // 00000000ADB0: BEFE0124
	s_mov_b64 exec, s[28:29]                                   // 00000000ADB4: BEFE011C
	global_atomic_pk_add_bf16 v88, v72, s[8:9]                 // 00000000ADB8: DD488000 00084858
	s_mov_b64 exec, s[36:37]                                   // 00000000ADC0: BEFE0124
	s_mov_b64 exec, s[28:29]                                   // 00000000ADC4: BEFE011C
	global_atomic_pk_add_bf16 v88, v73, s[8:9] offset:256      // 00000000ADC8: DD488100 00084958
	s_mov_b64 exec, s[36:37]                                   // 00000000ADD0: BEFE0124
	s_mov_b64 exec, s[30:31]                                   // 00000000ADD4: BEFE011E
	global_atomic_pk_add_bf16 v90, v74, s[8:9]                 // 00000000ADD8: DD488000 00084A5A
	s_mov_b64 exec, s[36:37]                                   // 00000000ADE0: BEFE0124
	s_mov_b64 exec, s[30:31]                                   // 00000000ADE4: BEFE011E
	global_atomic_pk_add_bf16 v90, v75, s[8:9] offset:256      // 00000000ADE8: DD488100 00084B5A
	s_mov_b64 exec, s[36:37]                                   // 00000000ADF0: BEFE0124
	s_mov_b64 exec, s[32:33]                                   // 00000000ADF4: BEFE0120
	global_atomic_pk_add_bf16 v92, v76, s[8:9]                 // 00000000ADF8: DD488000 00084C5C
	s_mov_b64 exec, s[36:37]                                   // 00000000AE00: BEFE0124
	s_mov_b64 exec, s[32:33]                                   // 00000000AE04: BEFE0120
	global_atomic_pk_add_bf16 v92, v77, s[8:9] offset:256      // 00000000AE08: DD488100 00084D5C
	s_mov_b64 exec, s[36:37]                                   // 00000000AE10: BEFE0124
	s_mov_b64 exec, s[34:35]                                   // 00000000AE14: BEFE0122
	global_atomic_pk_add_bf16 v94, v78, s[8:9]                 // 00000000AE18: DD488000 00084E5E
	s_mov_b64 exec, s[36:37]                                   // 00000000AE20: BEFE0124
	s_mov_b64 exec, s[34:35]                                   // 00000000AE24: BEFE0122
	global_atomic_pk_add_bf16 v94, v79, s[8:9] offset:256      // 00000000AE28: DD488100 00084F5E
	s_mov_b64 exec, s[36:37]                                   // 00000000AE30: BEFE0124
	s_add_u32 s8, s59, s8                                      // 00000000AE34: 8008083B
	s_addc_u32 s9, 0, s9                                       // 00000000AE38: 82090980
	s_addk_i32 s80, 0x100                                      // 00000000AE3C: B7500100
	s_cmp_lt_i32 s80, s81                                      // 00000000AE40: BF045150
	s_cbranch_scc0 label_116C                                  // 00000000AE44: BF84F15A
	s_branch label_1A88                                        // 00000000AE48: BF82FA75

000000000000ae4c <label_2013>:
	s_waitcnt vmcnt(0) expcnt(0) lgkmcnt(0)                    // 00000000AE4C: BF8C0000
	s_add_u32 s100, s100, 1                                    // 00000000AE50: 80648164
	s_cmp_eq_u32 s96, 0                                        // 00000000AE54: BF068060
	s_cbranch_scc0 label_0039                                  // 00000000AE58: BF84E022

000000000000ae5c <label_2017>:
	s_waitcnt vmcnt(0) expcnt(0) lgkmcnt(0)                    // 00000000AE5C: BF8C0000
	s_endpgm                                                   // 00000000AE60: BF810000
